;; amdgpu-corpus repo=ROCm/rocFFT kind=compiled arch=gfx1030 opt=O3
	.text
	.amdgcn_target "amdgcn-amd-amdhsa--gfx1030"
	.amdhsa_code_object_version 6
	.protected	fft_rtc_fwd_len121_factors_11_11_wgs_121_tpt_11_half_op_CI_CI_sbcc_twdbase8_3step ; -- Begin function fft_rtc_fwd_len121_factors_11_11_wgs_121_tpt_11_half_op_CI_CI_sbcc_twdbase8_3step
	.globl	fft_rtc_fwd_len121_factors_11_11_wgs_121_tpt_11_half_op_CI_CI_sbcc_twdbase8_3step
	.p2align	8
	.type	fft_rtc_fwd_len121_factors_11_11_wgs_121_tpt_11_half_op_CI_CI_sbcc_twdbase8_3step,@function
fft_rtc_fwd_len121_factors_11_11_wgs_121_tpt_11_half_op_CI_CI_sbcc_twdbase8_3step: ; @fft_rtc_fwd_len121_factors_11_11_wgs_121_tpt_11_half_op_CI_CI_sbcc_twdbase8_3step
; %bb.0:
	s_clause 0x1
	s_load_dwordx4 s[20:23], s[4:5], 0x18
	s_load_dwordx2 s[30:31], s[4:5], 0x28
	s_mov_b64 s[24:25], 0
	s_waitcnt lgkmcnt(0)
	s_load_dwordx2 s[28:29], s[20:21], 0x8
	s_waitcnt lgkmcnt(0)
	s_add_u32 s0, s28, -1
	s_addc_u32 s1, s29, -1
	s_add_u32 s2, 0, 0x5d161400
	s_addc_u32 s3, 0, 0x54
	s_mul_hi_u32 s8, s2, -11
	s_add_i32 s3, s3, 0x1745d120
	s_sub_i32 s8, s8, s2
	s_mul_i32 s10, s3, -11
	s_mul_i32 s7, s2, -11
	s_add_i32 s8, s8, s10
	s_mul_hi_u32 s9, s2, s7
	s_mul_i32 s12, s2, s8
	s_mul_hi_u32 s10, s2, s8
	s_mul_hi_u32 s11, s3, s7
	s_mul_i32 s7, s3, s7
	s_add_u32 s9, s9, s12
	s_addc_u32 s10, 0, s10
	s_mul_hi_u32 s13, s3, s8
	s_add_u32 s7, s9, s7
	s_mul_i32 s8, s3, s8
	s_addc_u32 s7, s10, s11
	s_addc_u32 s9, s13, 0
	s_add_u32 s7, s7, s8
	v_add_co_u32 v1, s2, s2, s7
	s_addc_u32 s7, 0, s9
	s_cmp_lg_u32 s2, 0
	s_addc_u32 s2, s3, s7
	v_readfirstlane_b32 s3, v1
	s_mul_i32 s8, s0, s2
	s_mul_hi_u32 s7, s0, s2
	s_mul_hi_u32 s9, s1, s2
	s_mul_i32 s2, s1, s2
	s_mul_hi_u32 s10, s0, s3
	s_mul_hi_u32 s11, s1, s3
	s_mul_i32 s3, s1, s3
	s_add_u32 s8, s10, s8
	s_addc_u32 s7, 0, s7
	s_add_u32 s3, s8, s3
	s_addc_u32 s3, s7, s11
	s_addc_u32 s7, s9, 0
	s_add_u32 s2, s3, s2
	s_addc_u32 s3, 0, s7
	s_mul_i32 s8, s2, 11
	s_add_u32 s7, s2, 1
	v_sub_co_u32 v1, s0, s0, s8
	s_mul_hi_u32 s8, s2, 11
	s_addc_u32 s9, s3, 0
	s_mul_i32 s10, s3, 11
	v_sub_co_u32 v2, s11, v1, 11
	s_add_u32 s12, s2, 2
	s_addc_u32 s13, s3, 0
	s_add_i32 s8, s8, s10
	s_cmp_lg_u32 s0, 0
	v_readfirstlane_b32 s0, v2
	s_subb_u32 s1, s1, s8
	s_cmp_lg_u32 s11, 0
	s_subb_u32 s8, s1, 0
	s_cmp_gt_u32 s0, 10
	s_cselect_b32 s0, -1, 0
	s_cmp_eq_u32 s8, 0
	v_readfirstlane_b32 s8, v1
	s_cselect_b32 s0, s0, -1
	s_cmp_lg_u32 s0, 0
	s_cselect_b32 s0, s12, s7
	s_cselect_b32 s9, s13, s9
	s_cmp_gt_u32 s8, 10
	s_cselect_b32 s7, -1, 0
	s_cmp_eq_u32 s1, 0
	s_cselect_b32 s1, s7, -1
	s_mov_b32 s7, 0
	s_cmp_lg_u32 s1, 0
	s_cselect_b32 s0, s0, s2
	s_cselect_b32 s1, s9, s3
	s_add_u32 s36, s0, 1
	s_addc_u32 s37, s1, 0
	v_cmp_lt_u64_e64 s0, s[6:7], s[36:37]
	s_and_b32 vcc_lo, exec_lo, s0
	s_cbranch_vccnz .LBB0_2
; %bb.1:
	v_cvt_f32_u32_e32 v1, s36
	s_sub_i32 s1, 0, s36
	s_mov_b32 s25, s7
	v_rcp_iflag_f32_e32 v1, v1
	v_mul_f32_e32 v1, 0x4f7ffffe, v1
	v_cvt_u32_f32_e32 v1, v1
	v_readfirstlane_b32 s0, v1
	s_mul_i32 s1, s1, s0
	s_mul_hi_u32 s1, s0, s1
	s_add_i32 s0, s0, s1
	s_mul_hi_u32 s0, s6, s0
	s_mul_i32 s1, s0, s36
	s_add_i32 s2, s0, 1
	s_sub_i32 s1, s6, s1
	s_sub_i32 s3, s1, s36
	s_cmp_ge_u32 s1, s36
	s_cselect_b32 s0, s2, s0
	s_cselect_b32 s1, s3, s1
	s_add_i32 s2, s0, 1
	s_cmp_ge_u32 s1, s36
	s_cselect_b32 s24, s2, s0
.LBB0_2:
	s_load_dwordx4 s[16:19], s[22:23], 0x0
	s_load_dwordx4 s[0:3], s[30:31], 0x0
	s_clause 0x1
	s_load_dwordx4 s[12:15], s[4:5], 0x8
	s_load_dwordx2 s[26:27], s[4:5], 0x0
	s_mul_i32 s8, s24, s37
	s_mul_hi_u32 s9, s24, s36
	s_mul_i32 s10, s24, s36
	s_add_i32 s9, s9, s8
	s_sub_u32 s50, s6, s10
	s_subb_u32 s8, 0, s9
	s_mul_hi_u32 s33, s50, 11
	s_mul_i32 s34, s8, 11
	s_load_dwordx4 s[8:11], s[4:5], 0x60
	s_add_i32 s33, s33, s34
	s_mul_i32 s50, s50, 11
	s_waitcnt lgkmcnt(0)
	s_mul_i32 s4, s18, s33
	s_mul_hi_u32 s5, s18, s50
	v_cmp_lt_u64_e64 s40, s[14:15], 3
	s_mul_i32 s35, s2, s33
	s_mul_hi_u32 s38, s2, s50
	s_mul_i32 s34, s19, s50
	s_mul_i32 s39, s3, s50
	s_add_i32 s4, s5, s4
	s_add_i32 s5, s38, s35
	;; [unrolled: 1-line block ×3, first 2 shown]
	s_mul_i32 s34, s18, s50
	s_add_i32 s5, s5, s39
	s_and_b32 vcc_lo, exec_lo, s40
	s_mul_i32 s4, s2, s50
	s_cbranch_vccnz .LBB0_12
; %bb.3:
	s_add_u32 s38, s30, 16
	s_addc_u32 s39, s31, 0
	s_add_u32 s40, s22, 16
	s_addc_u32 s41, s23, 0
	;; [unrolled: 2-line block ×3, first 2 shown]
	s_mov_b64 s[42:43], 2
	s_mov_b32 s44, 0
.LBB0_4:                                ; =>This Inner Loop Header: Depth=1
	s_load_dwordx2 s[46:47], s[20:21], 0x0
	s_waitcnt lgkmcnt(0)
	s_or_b64 s[48:49], s[24:25], s[46:47]
	s_mov_b32 s45, s49
                                        ; implicit-def: $sgpr48_sgpr49
	s_cmp_lg_u64 s[44:45], 0
	s_mov_b32 s45, -1
	s_cbranch_scc0 .LBB0_6
; %bb.5:                                ;   in Loop: Header=BB0_4 Depth=1
	v_cvt_f32_u32_e32 v1, s46
	v_cvt_f32_u32_e32 v2, s47
	s_sub_u32 s49, 0, s46
	s_subb_u32 s51, 0, s47
	v_fmac_f32_e32 v1, 0x4f800000, v2
	v_rcp_f32_e32 v1, v1
	v_mul_f32_e32 v1, 0x5f7ffffc, v1
	v_mul_f32_e32 v2, 0x2f800000, v1
	v_trunc_f32_e32 v2, v2
	v_fmac_f32_e32 v1, 0xcf800000, v2
	v_cvt_u32_f32_e32 v2, v2
	v_cvt_u32_f32_e32 v1, v1
	v_readfirstlane_b32 s45, v2
	v_readfirstlane_b32 s48, v1
	s_mul_i32 s52, s49, s45
	s_mul_hi_u32 s54, s49, s48
	s_mul_i32 s53, s51, s48
	s_add_i32 s52, s54, s52
	s_mul_i32 s55, s49, s48
	s_add_i32 s52, s52, s53
	s_mul_hi_u32 s54, s48, s55
	s_mul_hi_u32 s56, s45, s55
	s_mul_i32 s53, s45, s55
	s_mul_hi_u32 s55, s48, s52
	s_mul_i32 s48, s48, s52
	s_mul_hi_u32 s57, s45, s52
	s_add_u32 s48, s54, s48
	s_addc_u32 s54, 0, s55
	s_add_u32 s48, s48, s53
	s_mul_i32 s52, s45, s52
	s_addc_u32 s48, s54, s56
	s_addc_u32 s53, s57, 0
	s_add_u32 s48, s48, s52
	s_addc_u32 s52, 0, s53
	v_add_co_u32 v1, s48, v1, s48
	s_cmp_lg_u32 s48, 0
	s_addc_u32 s45, s45, s52
	v_readfirstlane_b32 s48, v1
	s_mul_i32 s52, s49, s45
	s_mul_hi_u32 s53, s49, s48
	s_mul_i32 s51, s51, s48
	s_add_i32 s52, s53, s52
	s_mul_i32 s49, s49, s48
	s_add_i32 s52, s52, s51
	s_mul_hi_u32 s53, s45, s49
	s_mul_i32 s54, s45, s49
	s_mul_hi_u32 s49, s48, s49
	s_mul_hi_u32 s55, s48, s52
	s_mul_i32 s48, s48, s52
	s_mul_hi_u32 s51, s45, s52
	s_add_u32 s48, s49, s48
	s_addc_u32 s49, 0, s55
	s_add_u32 s48, s48, s54
	s_mul_i32 s52, s45, s52
	s_addc_u32 s48, s49, s53
	s_addc_u32 s49, s51, 0
	s_add_u32 s48, s48, s52
	s_addc_u32 s49, 0, s49
	v_add_co_u32 v1, s48, v1, s48
	s_cmp_lg_u32 s48, 0
	s_addc_u32 s45, s45, s49
	v_readfirstlane_b32 s48, v1
	s_mul_i32 s51, s24, s45
	s_mul_hi_u32 s49, s24, s45
	s_mul_hi_u32 s52, s25, s45
	s_mul_i32 s45, s25, s45
	s_mul_hi_u32 s53, s24, s48
	s_mul_hi_u32 s54, s25, s48
	s_mul_i32 s48, s25, s48
	s_add_u32 s51, s53, s51
	s_addc_u32 s49, 0, s49
	s_add_u32 s48, s51, s48
	s_addc_u32 s48, s49, s54
	s_addc_u32 s49, s52, 0
	s_add_u32 s48, s48, s45
	s_addc_u32 s49, 0, s49
	s_mul_hi_u32 s45, s46, s48
	s_mul_i32 s52, s46, s49
	s_mul_i32 s53, s46, s48
	s_add_i32 s45, s45, s52
	v_sub_co_u32 v1, s52, s24, s53
	s_mul_i32 s51, s47, s48
	s_add_i32 s45, s45, s51
	v_sub_co_u32 v2, s53, v1, s46
	s_sub_i32 s51, s25, s45
	s_cmp_lg_u32 s52, 0
	s_subb_u32 s51, s51, s47
	s_cmp_lg_u32 s53, 0
	v_readfirstlane_b32 s53, v2
	s_subb_u32 s51, s51, 0
	s_cmp_ge_u32 s51, s47
	s_cselect_b32 s54, -1, 0
	s_cmp_ge_u32 s53, s46
	s_cselect_b32 s53, -1, 0
	s_cmp_eq_u32 s51, s47
	s_cselect_b32 s51, s53, s54
	s_add_u32 s53, s48, 1
	s_addc_u32 s54, s49, 0
	s_add_u32 s55, s48, 2
	s_addc_u32 s56, s49, 0
	s_cmp_lg_u32 s51, 0
	s_cselect_b32 s51, s55, s53
	s_cselect_b32 s53, s56, s54
	s_cmp_lg_u32 s52, 0
	v_readfirstlane_b32 s52, v1
	s_subb_u32 s45, s25, s45
	s_cmp_ge_u32 s45, s47
	s_cselect_b32 s54, -1, 0
	s_cmp_ge_u32 s52, s46
	s_cselect_b32 s52, -1, 0
	s_cmp_eq_u32 s45, s47
	s_cselect_b32 s45, s52, s54
	s_cmp_lg_u32 s45, 0
	s_mov_b32 s45, 0
	s_cselect_b32 s49, s53, s49
	s_cselect_b32 s48, s51, s48
.LBB0_6:                                ;   in Loop: Header=BB0_4 Depth=1
	s_andn2_b32 vcc_lo, exec_lo, s45
	s_cbranch_vccnz .LBB0_8
; %bb.7:                                ;   in Loop: Header=BB0_4 Depth=1
	v_cvt_f32_u32_e32 v1, s46
	s_sub_i32 s48, 0, s46
	v_rcp_iflag_f32_e32 v1, v1
	v_mul_f32_e32 v1, 0x4f7ffffe, v1
	v_cvt_u32_f32_e32 v1, v1
	v_readfirstlane_b32 s45, v1
	s_mul_i32 s48, s48, s45
	s_mul_hi_u32 s48, s45, s48
	s_add_i32 s45, s45, s48
	s_mul_hi_u32 s45, s24, s45
	s_mul_i32 s48, s45, s46
	s_add_i32 s49, s45, 1
	s_sub_i32 s48, s24, s48
	s_sub_i32 s51, s48, s46
	s_cmp_ge_u32 s48, s46
	s_cselect_b32 s45, s49, s45
	s_cselect_b32 s48, s51, s48
	s_add_i32 s49, s45, 1
	s_cmp_ge_u32 s48, s46
	s_cselect_b32 s48, s49, s45
	s_mov_b32 s49, s44
.LBB0_8:                                ;   in Loop: Header=BB0_4 Depth=1
	s_load_dwordx2 s[52:53], s[40:41], 0x0
	s_load_dwordx2 s[54:55], s[38:39], 0x0
	s_mul_i32 s37, s46, s37
	s_mul_hi_u32 s45, s46, s36
	s_mul_i32 s51, s47, s36
	s_mul_i32 s47, s48, s47
	s_mul_hi_u32 s56, s48, s46
	s_mul_i32 s57, s49, s46
	s_add_i32 s37, s45, s37
	s_add_i32 s45, s56, s47
	s_mul_i32 s58, s48, s46
	s_add_i32 s37, s37, s51
	s_add_i32 s45, s45, s57
	s_sub_u32 s24, s24, s58
	s_subb_u32 s25, s25, s45
	s_mul_i32 s36, s46, s36
	s_waitcnt lgkmcnt(0)
	s_mul_i32 s45, s52, s25
	s_mul_hi_u32 s47, s52, s24
	s_mul_i32 s51, s53, s24
	s_add_i32 s45, s47, s45
	s_mul_i32 s52, s52, s24
	s_mul_i32 s25, s54, s25
	s_mul_hi_u32 s47, s54, s24
	s_add_i32 s45, s45, s51
	s_add_u32 s34, s52, s34
	s_addc_u32 s35, s45, s35
	s_add_i32 s25, s47, s25
	s_mul_i32 s45, s55, s24
	s_mul_i32 s24, s54, s24
	s_add_i32 s25, s25, s45
	s_add_u32 s4, s24, s4
	s_addc_u32 s5, s25, s5
	s_add_u32 s42, s42, 1
	s_addc_u32 s43, s43, 0
	s_add_u32 s38, s38, 8
	v_cmp_ge_u64_e64 s24, s[42:43], s[14:15]
	s_addc_u32 s39, s39, 0
	s_add_u32 s40, s40, 8
	s_addc_u32 s41, s41, 0
	s_add_u32 s20, s20, 8
	s_addc_u32 s21, s21, 0
	s_and_b32 vcc_lo, exec_lo, s24
	s_cbranch_vccnz .LBB0_10
; %bb.9:                                ;   in Loop: Header=BB0_4 Depth=1
	s_mov_b64 s[24:25], s[48:49]
	s_branch .LBB0_4
.LBB0_10:
	v_cmp_lt_u64_e64 s7, s[6:7], s[36:37]
	s_mov_b64 s[24:25], 0
	s_and_b32 vcc_lo, exec_lo, s7
	s_cbranch_vccnz .LBB0_12
; %bb.11:
	v_cvt_f32_u32_e32 v1, s36
	s_sub_i32 s20, 0, s36
	v_rcp_iflag_f32_e32 v1, v1
	v_mul_f32_e32 v1, 0x4f7ffffe, v1
	v_cvt_u32_f32_e32 v1, v1
	v_readfirstlane_b32 s7, v1
	s_mul_i32 s20, s20, s7
	s_mul_hi_u32 s20, s7, s20
	s_add_i32 s7, s7, s20
	s_mul_hi_u32 s7, s6, s7
	s_mul_i32 s20, s7, s36
	s_sub_i32 s6, s6, s20
	s_add_i32 s20, s7, 1
	s_sub_i32 s21, s6, s36
	s_cmp_ge_u32 s6, s36
	s_cselect_b32 s7, s20, s7
	s_cselect_b32 s6, s21, s6
	s_add_i32 s20, s7, 1
	s_cmp_ge_u32 s6, s36
	s_cselect_b32 s24, s20, s7
.LBB0_12:
	v_mul_u32_u24_e32 v1, 0x1746, v0
	s_lshl_b64 s[14:15], s[14:15], 3
	s_add_u32 s6, s30, s14
	s_addc_u32 s7, s31, s15
	v_lshrrev_b32_e32 v19, 16, v1
	s_add_u32 s20, s50, 11
	s_addc_u32 s21, s33, 0
	v_cmp_le_u64_e64 s20, s[20:21], s[28:29]
	v_mul_lo_u16 v1, v19, 11
	v_lshlrev_b32_e32 v22, 2, v19
	v_add_nc_u32_e32 v20, 11, v19
	v_add_nc_u32_e32 v18, 22, v19
	;; [unrolled: 1-line block ×3, first 2 shown]
	v_sub_nc_u16 v0, v0, v1
	v_add_nc_u32_e32 v16, 44, v19
	v_add_nc_u32_e32 v15, 55, v19
	v_add_nc_u32_e32 v14, 0x42, v19
	v_add_nc_u32_e32 v13, 0x4d, v19
	v_and_b32_e32 v21, 0xffff, v0
	v_add_nc_u32_e32 v11, 0x58, v19
	v_add_nc_u32_e32 v12, 0x63, v19
	;; [unrolled: 1-line block ×3, first 2 shown]
	v_add_co_u32 v0, s21, s50, v21
	v_add_co_ci_u32_e64 v1, null, s33, 0, s21
	v_mul_u32_u24_e32 v23, 0x1e4, v21
	v_cmp_gt_u64_e32 vcc_lo, s[28:29], v[0:1]
	s_or_b32 s20, s20, vcc_lo
	s_and_saveexec_b32 s21, s20
	s_cbranch_execz .LBB0_14
; %bb.13:
	s_add_u32 s14, s22, s14
	s_addc_u32 s15, s23, s15
	v_mad_u64_u32 v[0:1], null, s18, v21, 0
	s_load_dwordx2 s[14:15], s[14:15], 0x0
	v_mad_u64_u32 v[2:3], null, s16, v19, 0
	v_mad_u64_u32 v[4:5], null, s16, v20, 0
	;; [unrolled: 1-line block ×4, first 2 shown]
	v_mov_b32_e32 v1, v3
	v_mov_b32_e32 v3, v5
	v_mad_u64_u32 v[7:8], null, s16, v18, 0
	v_mad_u64_u32 v[24:25], null, s17, v19, v[1:2]
	v_mov_b32_e32 v1, v6
	v_mad_u64_u32 v[5:6], null, s17, v20, v[3:4]
	s_waitcnt lgkmcnt(0)
	s_mul_i32 s15, s15, s24
	s_mul_hi_u32 s18, s14, s24
	s_mul_i32 s14, s14, s24
	s_add_i32 s15, s18, s15
	v_lshlrev_b64 v[0:1], 2, v[0:1]
	s_lshl_b64 s[14:15], s[14:15], 2
	v_mov_b32_e32 v3, v24
	s_add_u32 s14, s8, s14
	s_addc_u32 s15, s9, s15
	s_lshl_b64 s[8:9], s[34:35], 2
	v_mad_u64_u32 v[24:25], null, s16, v17, 0
	s_add_u32 s8, s14, s8
	s_addc_u32 s9, s15, s9
	v_add_co_u32 v41, vcc_lo, s8, v0
	v_add_co_ci_u32_e32 v42, vcc_lo, s9, v1, vcc_lo
	v_lshlrev_b64 v[1:2], 2, v[2:3]
	v_mov_b32_e32 v0, v8
	v_mad_u64_u32 v[8:9], null, s17, v18, v[0:1]
	v_add_co_u32 v0, vcc_lo, v41, v1
	v_add_co_ci_u32_e32 v1, vcc_lo, v42, v2, vcc_lo
	v_lshlrev_b64 v[2:3], 2, v[4:5]
	v_mad_u64_u32 v[5:6], null, s16, v16, 0
	v_mov_b32_e32 v4, v25
	v_lshlrev_b64 v[7:8], 2, v[7:8]
	v_add_co_u32 v2, vcc_lo, v41, v2
	v_add_co_ci_u32_e32 v3, vcc_lo, v42, v3, vcc_lo
	v_mad_u64_u32 v[25:26], null, s17, v17, v[4:5]
	v_mov_b32_e32 v4, v6
	v_mad_u64_u32 v[26:27], null, s16, v15, 0
	v_add_co_u32 v7, vcc_lo, v41, v7
	v_mad_u64_u32 v[28:29], null, s17, v16, v[4:5]
	v_mad_u64_u32 v[29:30], null, s16, v14, 0
	v_mov_b32_e32 v4, v27
	v_lshlrev_b64 v[24:25], 2, v[24:25]
	v_add_co_ci_u32_e32 v8, vcc_lo, v42, v8, vcc_lo
	v_mov_b32_e32 v6, v28
	v_mad_u64_u32 v[31:32], null, s17, v15, v[4:5]
	v_add_co_u32 v24, vcc_lo, v41, v24
	v_lshlrev_b64 v[4:5], 2, v[5:6]
	v_mov_b32_e32 v6, v30
	v_add_co_ci_u32_e32 v25, vcc_lo, v42, v25, vcc_lo
	v_mov_b32_e32 v27, v31
	v_mad_u64_u32 v[31:32], null, s16, v13, 0
	v_mad_u64_u32 v[33:34], null, s17, v14, v[6:7]
	;; [unrolled: 1-line block ×3, first 2 shown]
	v_lshlrev_b64 v[26:27], 2, v[26:27]
	v_add_co_u32 v4, vcc_lo, v41, v4
	v_mov_b32_e32 v6, v32
	v_mov_b32_e32 v30, v33
	v_add_co_ci_u32_e32 v5, vcc_lo, v42, v5, vcc_lo
	v_mov_b32_e32 v9, v35
	v_mad_u64_u32 v[32:33], null, s17, v13, v[6:7]
	v_mov_b32_e32 v6, v37
	v_lshlrev_b64 v[28:29], 2, v[29:30]
	v_mad_u64_u32 v[38:39], null, s17, v11, v[9:10]
	v_mad_u64_u32 v[39:40], null, s16, v10, 0
	v_lshlrev_b64 v[30:31], 2, v[31:32]
	v_add_co_u32 v26, vcc_lo, v41, v26
	v_add_co_ci_u32_e32 v27, vcc_lo, v42, v27, vcc_lo
	v_mov_b32_e32 v35, v38
	v_mad_u64_u32 v[37:38], null, s17, v12, v[6:7]
	v_mov_b32_e32 v6, v40
	v_add_co_u32 v28, vcc_lo, v41, v28
	v_add_co_ci_u32_e32 v29, vcc_lo, v42, v29, vcc_lo
	v_mad_u64_u32 v[32:33], null, s17, v10, v[6:7]
	v_lshlrev_b64 v[33:34], 2, v[34:35]
	v_add_co_u32 v30, vcc_lo, v41, v30
	v_lshlrev_b64 v[35:36], 2, v[36:37]
	v_add_co_ci_u32_e32 v31, vcc_lo, v42, v31, vcc_lo
	v_mov_b32_e32 v40, v32
	v_add_co_u32 v32, vcc_lo, v41, v33
	v_add_co_ci_u32_e32 v33, vcc_lo, v42, v34, vcc_lo
	v_lshlrev_b64 v[37:38], 2, v[39:40]
	v_add_co_u32 v34, vcc_lo, v41, v35
	v_add_co_ci_u32_e32 v35, vcc_lo, v42, v36, vcc_lo
	v_add_co_u32 v36, vcc_lo, v41, v37
	v_add_co_ci_u32_e32 v37, vcc_lo, v42, v38, vcc_lo
	s_clause 0xa
	global_load_dword v0, v[0:1], off
	global_load_dword v1, v[2:3], off
	;; [unrolled: 1-line block ×11, first 2 shown]
	v_add3_u32 v25, 0, v23, v22
	s_waitcnt vmcnt(9)
	ds_write2_b32 v25, v0, v1 offset1:11
	s_waitcnt vmcnt(7)
	ds_write2_b32 v25, v2, v3 offset0:22 offset1:33
	s_waitcnt vmcnt(5)
	ds_write2_b32 v25, v4, v5 offset0:44 offset1:55
	;; [unrolled: 2-line block ×4, first 2 shown]
	s_waitcnt vmcnt(0)
	ds_write_b32 v25, v24 offset:440
.LBB0_14:
	s_or_b32 exec_lo, exec_lo, s21
	s_add_u32 s8, 0, 0x5d161400
	s_addc_u32 s9, 0, 0x54
	s_mul_hi_u32 s15, s8, -11
	s_add_i32 s9, s9, 0x1745d120
	s_sub_i32 s15, s15, s8
	s_mul_i32 s16, s9, -11
	s_mul_i32 s14, s8, -11
	s_add_i32 s15, s15, s16
	s_mul_hi_u32 s17, s9, s14
	s_mul_i32 s16, s9, s14
	s_mul_i32 s18, s8, s15
	s_mul_hi_u32 s14, s8, s14
	s_mul_hi_u32 s19, s8, s15
	s_add_u32 s14, s14, s18
	s_addc_u32 s18, 0, s19
	s_mul_hi_u32 s19, s9, s15
	s_add_u32 s14, s14, s16
	s_addc_u32 s14, s18, s17
	s_mul_i32 s15, s9, s15
	s_addc_u32 s16, s19, 0
	s_add_u32 s14, s14, s15
	s_load_dwordx2 s[6:7], s[6:7], 0x0
	v_add_co_u32 v2, s8, s8, s14
	s_addc_u32 s14, 0, s16
	s_cmp_lg_u32 s8, 0
	v_add_co_u32 v25, s8, s50, v19
	s_addc_u32 s9, s9, s14
	v_add_co_ci_u32_e64 v4, null, s33, 0, s8
	v_mad_u64_u32 v[0:1], null, v25, s9, 0
	v_mul_hi_u32 v5, v25, v2
	v_mad_u64_u32 v[2:3], null, v4, v2, 0
	s_waitcnt lgkmcnt(0)
	s_barrier
	buffer_gl0_inv
	v_mov_b32_e32 v29, 0xb853
	v_mov_b32_e32 v32, 0xbb47
	v_add_co_u32 v5, vcc_lo, v5, v0
	v_add_co_ci_u32_e32 v6, vcc_lo, 0, v1, vcc_lo
	v_mad_u64_u32 v[0:1], null, v4, s9, 0
	v_add_co_u32 v2, vcc_lo, v5, v2
	v_add_co_ci_u32_e32 v2, vcc_lo, v6, v3, vcc_lo
	v_mov_b32_e32 v30, 0xbbeb
	v_mov_b32_e32 v31, 0xba0c
	v_add_co_ci_u32_e32 v1, vcc_lo, 0, v1, vcc_lo
	v_add_co_u32 v0, vcc_lo, v2, v0
	v_mov_b32_e32 v33, 0x3482
	v_add_co_ci_u32_e32 v2, vcc_lo, 0, v1, vcc_lo
	v_mad_u64_u32 v[0:1], null, v0, 11, 0
	v_mov_b32_e32 v34, 0x3beb
	v_add_nc_u32_e32 v85, 0x58, v21
	v_add_nc_u32_e32 v86, 0x6e, v21
	v_mad_u64_u32 v[1:2], null, v2, 11, v[1:2]
	v_sub_co_u32 v0, vcc_lo, v25, v0
	v_mul_lo_u32 v85, v25, v85
	v_sub_co_ci_u32_e32 v1, vcc_lo, v4, v1, vcc_lo
	v_sub_co_u32 v2, vcc_lo, v0, 11
	v_subrev_co_ci_u32_e32 v3, vcc_lo, 0, v1, vcc_lo
	v_cmp_lt_u32_e32 vcc_lo, 10, v2
	v_cndmask_b32_e64 v4, 0, -1, vcc_lo
	v_cmp_lt_u32_e32 vcc_lo, 10, v0
	v_cndmask_b32_e64 v5, 0, -1, vcc_lo
	v_cmp_eq_u32_e32 vcc_lo, 0, v3
	v_cndmask_b32_e32 v3, -1, v4, vcc_lo
	v_cmp_eq_u32_e32 vcc_lo, 0, v1
	v_add_nc_u32_e32 v4, -11, v2
	v_cndmask_b32_e32 v1, -1, v5, vcc_lo
	v_cmp_ne_u32_e32 vcc_lo, 0, v3
	v_cndmask_b32_e32 v2, v2, v4, vcc_lo
	v_cmp_ne_u32_e32 vcc_lo, 0, v1
	v_lshlrev_b32_e32 v1, 2, v21
	v_cndmask_b32_e32 v0, v0, v2, vcc_lo
	v_mul_u32_u24_e32 v0, 0x79, v0
	v_lshlrev_b32_e32 v0, 2, v0
	v_add3_u32 v26, 0, v0, v1
	v_add3_u32 v24, 0, v1, v0
	ds_read_b32 v0, v26
	ds_read2_b32 v[2:3], v24 offset0:11 offset1:22
	ds_read2_b32 v[4:5], v24 offset0:99 offset1:110
	;; [unrolled: 1-line block ×5, first 2 shown]
	v_mad_u32_u24 v1, v21, 40, v24
	s_waitcnt lgkmcnt(0)
	s_barrier
	buffer_gl0_inv
	v_alignbit_b32 v37, s0, v0, 16
	v_pk_add_f16 v35, v0, v2
	v_pk_add_f16 v38, v4, v3
	v_pk_add_f16 v39, v3, v4 neg_lo:[0,1] neg_hi:[0,1]
	v_pk_add_f16 v36, v5, v2
	v_pk_add_f16 v2, v2, v5 neg_lo:[0,1] neg_hi:[0,1]
	v_pk_add_f16 v3, v35, v3
	v_pk_mul_f16 v48, 0x36a6b93d, v38
	v_mul_f16_sdwa v32, v39, v32 dst_sel:DWORD dst_unused:UNUSED_PAD src0_sel:WORD_1 src1_sel:DWORD
	v_pk_mul_f16 v41, 0x3abb36a6, v36
	v_mul_f16_sdwa v35, v2, v29 dst_sel:DWORD dst_unused:UNUSED_PAD src0_sel:WORD_1 src1_sel:DWORD
	v_pk_add_f16 v3, v3, v6
	v_lshrrev_b32_e32 v42, 16, v36
	v_mul_f16_e32 v43, 0xbb47, v2
	v_mul_f16_e32 v45, 0xbbeb, v2
	;; [unrolled: 1-line block ×3, first 2 shown]
	v_pk_add_f16 v3, v3, v7
	v_fma_f16 v53, v36, 0x3abb, -v35
	v_fmac_f16_e32 v35, 0x3abb, v36
	v_pk_fma_f16 v54, 0xbb47b853, v2, v41 op_sel:[0,0,1] op_sel_hi:[1,1,0] neg_lo:[0,1,0] neg_hi:[0,1,0]
	v_pk_fma_f16 v41, 0xbb47b853, v2, v41 op_sel:[0,0,1] op_sel_hi:[1,1,0]
	v_pk_add_f16 v3, v3, v27
	v_fmamk_f16 v55, v42, 0x36a6, v43
	v_fma_f16 v43, v42, 0x36a6, -v43
	v_fmamk_f16 v57, v42, 0xb08e, v45
	v_fma_f16 v45, v42, 0xb08e, -v45
	v_pk_add_f16 v3, v3, v28
	v_fmamk_f16 v59, v42, 0xb93d, v47
	v_fma_f16 v42, v42, 0xb93d, -v47
	v_fma_f16 v47, v38, 0x36a6, -v32
	v_add_f16_e32 v53, v0, v53
	v_pk_add_f16 v3, v3, v8
	v_pk_add_f16 v40, v9, v6
	v_mul_f16_sdwa v44, v2, v30 dst_sel:DWORD dst_unused:UNUSED_PAD src0_sel:WORD_1 src1_sel:DWORD
	v_mul_f16_sdwa v46, v2, v31 dst_sel:DWORD dst_unused:UNUSED_PAD src0_sel:WORD_1 src1_sel:DWORD
	v_fmac_f16_e32 v32, 0x36a6, v38
	v_pk_fma_f16 v60, 0xba0cbb47, v39, v48 op_sel:[0,0,1] op_sel_hi:[1,1,0] neg_lo:[0,1,0] neg_hi:[0,1,0]
	v_pk_fma_f16 v48, 0xba0cbb47, v39, v48 op_sel:[0,0,1] op_sel_hi:[1,1,0]
	v_add_f16_e32 v35, v0, v35
	v_add_f16_e32 v47, v47, v53
	v_bfi_b32 v53, 0xffff, v41, v54
	v_alignbit_b32 v41, s0, v41, 16
	v_pk_add_f16 v3, v3, v9
	v_lshrrev_b32_e32 v49, 16, v38
	v_mul_f16_e32 v50, 0xba0c, v39
	v_mul_f16_sdwa v33, v39, v33 dst_sel:DWORD dst_unused:UNUSED_PAD src0_sel:WORD_1 src1_sel:DWORD
	v_mul_f16_e32 v51, 0x3482, v39
	v_mul_f16_sdwa v34, v39, v34 dst_sel:DWORD dst_unused:UNUSED_PAD src0_sel:WORD_1 src1_sel:DWORD
	v_mul_f16_e32 v52, 0x3beb, v39
	v_fma_f16 v56, v36, 0xb08e, -v44
	v_fmac_f16_e32 v44, 0xb08e, v36
	v_fma_f16 v58, v36, 0xb93d, -v46
	v_fmac_f16_e32 v46, 0xb93d, v36
	v_add_f16_e32 v32, v32, v35
	v_bfi_b32 v35, 0xffff, v48, v60
	v_alignbit_b32 v48, s0, v48, 16
	v_pk_add_f16 v41, v0, v41
	v_pk_add_f16 v3, v3, v4
	v_pk_add_f16 v6, v6, v9 neg_lo:[0,1] neg_hi:[0,1]
	v_pk_mul_f16 v9, 0xb08ebbad, v40
	v_fmamk_f16 v61, v49, 0xb93d, v50
	v_fma_f16 v50, v49, 0xb93d, -v50
	v_fma_f16 v62, v38, 0xbbad, -v33
	v_fmamk_f16 v63, v49, 0xbbad, v51
	v_fmac_f16_e32 v33, 0xbbad, v38
	v_fma_f16 v51, v49, 0xbbad, -v51
	v_fma_f16 v64, v38, 0xb08e, -v34
	v_add_f16_e32 v44, v0, v44
	v_add_f16_sdwa v45, v0, v45 dst_sel:DWORD dst_unused:UNUSED_PAD src0_sel:WORD_1 src1_sel:DWORD
	v_add_f16_e32 v46, v0, v46
	v_add_f16_sdwa v42, v0, v42 dst_sel:DWORD dst_unused:UNUSED_PAD src0_sel:WORD_1 src1_sel:DWORD
	v_pk_add_f16 v53, v0, v53 op_sel:[1,0] op_sel_hi:[0,1]
	v_pk_add_f16 v41, v48, v41
	v_pk_add_f16 v3, v3, v5
	v_fmamk_f16 v5, v49, 0xb08e, v52
	v_fmac_f16_e32 v34, 0xb08e, v38
	v_fma_f16 v48, v49, 0xb08e, -v52
	v_mul_f16_sdwa v30, v6, v30 dst_sel:DWORD dst_unused:UNUSED_PAD src0_sel:WORD_1 src1_sel:DWORD
	v_pk_fma_f16 v49, 0x3482bbeb, v6, v9 op_sel:[0,0,1] op_sel_hi:[1,1,0] neg_lo:[0,1,0] neg_hi:[0,1,0]
	v_pk_fma_f16 v9, 0x3482bbeb, v6, v9 op_sel:[0,0,1] op_sel_hi:[1,1,0]
	v_add_f16_sdwa v55, v0, v55 dst_sel:DWORD dst_unused:UNUSED_PAD src0_sel:WORD_1 src1_sel:DWORD
	v_add_f16_sdwa v43, v0, v43 dst_sel:DWORD dst_unused:UNUSED_PAD src0_sel:WORD_1 src1_sel:DWORD
	v_add_f16_e32 v33, v33, v44
	v_pk_add_f16 v35, v35, v53
	v_add_f16_e32 v44, v51, v45
	v_add_f16_e32 v34, v34, v46
	;; [unrolled: 1-line block ×3, first 2 shown]
	v_fma_f16 v46, v40, 0xb08e, -v30
	v_fmac_f16_e32 v30, 0xb08e, v40
	v_bfi_b32 v48, 0xffff, v9, v49
	v_lshrrev_b32_e32 v51, 16, v40
	v_mov_b32_e32 v52, 0x3b47
	v_mul_f16_e32 v53, 0x3482, v6
	v_add_f16_e32 v56, v0, v56
	v_add_f16_e32 v55, v61, v55
	;; [unrolled: 1-line block ×5, first 2 shown]
	v_pk_add_f16 v32, v48, v35
	v_mul_f16_sdwa v35, v6, v52 dst_sel:DWORD dst_unused:UNUSED_PAD src0_sel:WORD_1 src1_sel:DWORD
	v_fmamk_f16 v47, v51, 0xbbad, v53
	v_mul_f16_e32 v48, 0x3b47, v6
	v_alignbit_b32 v9, s0, v9, 16
	v_fma_f16 v53, v51, 0xbbad, -v53
	v_add_f16_sdwa v57, v0, v57 dst_sel:DWORD dst_unused:UNUSED_PAD src0_sel:WORD_1 src1_sel:DWORD
	v_add_f16_sdwa v59, v0, v59 dst_sel:DWORD dst_unused:UNUSED_PAD src0_sel:WORD_1 src1_sel:DWORD
	v_add_f16_e32 v50, v62, v56
	v_fma_f16 v56, v40, 0x36a6, -v35
	v_add_f16_e32 v47, v47, v55
	v_fmamk_f16 v55, v51, 0x36a6, v48
	v_pk_add_f16 v9, v9, v41
	v_add_f16_e32 v41, v53, v43
	v_fmac_f16_e32 v35, 0x36a6, v40
	v_fma_f16 v48, v51, 0x36a6, -v48
	v_mul_f16_e32 v53, 0xb853, v6
	v_add_f16_e32 v58, v0, v58
	v_add_f16_e32 v4, v63, v57
	v_add_f16_e32 v5, v5, v59
	v_add_f16_e32 v43, v56, v50
	v_mul_f16_sdwa v50, v6, v29 dst_sel:DWORD dst_unused:UNUSED_PAD src0_sel:WORD_1 src1_sel:DWORD
	v_add_f16_e32 v33, v35, v33
	v_pk_add_f16 v35, v8, v7
	v_add_f16_e32 v44, v48, v44
	v_fmamk_f16 v48, v51, 0x3abb, v53
	v_pk_add_f16 v7, v7, v8 neg_lo:[0,1] neg_hi:[0,1]
	v_add_f16_e32 v45, v64, v58
	v_add_f16_e32 v4, v55, v4
	v_fma_f16 v55, v40, 0x3abb, -v50
	v_pk_mul_f16 v8, 0xb93db08e, v35
	v_fmac_f16_e32 v50, 0x3abb, v40
	v_add_f16_e32 v5, v48, v5
	v_mul_f16_sdwa v48, v7, v31 dst_sel:DWORD dst_unused:UNUSED_PAD src0_sel:WORD_1 src1_sel:DWORD
	v_add_f16_e32 v45, v55, v45
	v_pk_fma_f16 v55, 0x3bebba0c, v7, v8 op_sel:[0,0,1] op_sel_hi:[1,1,0] neg_lo:[0,1,0] neg_hi:[0,1,0]
	v_pk_fma_f16 v8, 0x3bebba0c, v7, v8 op_sel:[0,0,1] op_sel_hi:[1,1,0]
	v_add_f16_e32 v34, v50, v34
	v_fma_f16 v50, v51, 0x3abb, -v53
	v_fma_f16 v51, v35, 0xb93d, -v48
	v_fmac_f16_e32 v48, 0xb93d, v35
	v_lshrrev_b32_e32 v56, 16, v35
	v_mul_f16_e32 v57, 0x3beb, v7
	v_bfi_b32 v53, 0xffff, v8, v55
	v_add_f16_e32 v42, v50, v42
	v_add_f16_e32 v30, v48, v30
	v_mul_f16_sdwa v29, v7, v29 dst_sel:DWORD dst_unused:UNUSED_PAD src0_sel:WORD_1 src1_sel:DWORD
	v_fmamk_f16 v48, v56, 0xb08e, v57
	v_mov_b32_e32 v50, 0xb482
	v_pk_add_f16 v32, v53, v32
	v_fma_f16 v53, v56, 0xb08e, -v57
	v_add_f16_e32 v46, v51, v46
	v_add_f16_e32 v47, v48, v47
	v_fma_f16 v48, v35, 0x3abb, -v29
	v_mul_f16_sdwa v57, v7, v50 dst_sel:DWORD dst_unused:UNUSED_PAD src0_sel:WORD_1 src1_sel:DWORD
	v_mul_f16_e32 v51, 0xb853, v7
	v_add_f16_e32 v41, v53, v41
	v_fmac_f16_e32 v29, 0x3abb, v35
	v_add_f16_e32 v43, v48, v43
	v_fma_f16 v48, v35, 0xbbad, -v57
	v_mul_f16_e32 v53, 0xb482, v7
	v_add_f16_sdwa v54, v0, v54 dst_sel:DWORD dst_unused:UNUSED_PAD src0_sel:WORD_1 src1_sel:DWORD
	v_fmamk_f16 v58, v56, 0x3abb, v51
	v_add_f16_e32 v29, v29, v33
	v_add_f16_e32 v45, v48, v45
	v_pk_add_f16 v48, v27, v28 neg_lo:[0,1] neg_hi:[0,1]
	v_fma_f16 v33, v56, 0x3abb, -v51
	v_fmamk_f16 v51, v56, 0xbbad, v53
	v_pk_add_f16 v27, v28, v27
	v_fmac_f16_e32 v57, 0xbbad, v35
	v_mul_f16_sdwa v28, v48, v50 dst_sel:DWORD dst_unused:UNUSED_PAD src0_sel:WORD_1 src1_sel:DWORD
	v_add_f16_e32 v50, v60, v54
	v_add_f16_e32 v5, v51, v5
	v_fma_f16 v51, v56, 0xbbad, -v53
	v_pk_mul_f16 v54, 0xbbad3abb, v27
	v_fma_f16 v53, v27, 0xbbad, -v28
	v_fmac_f16_e32 v28, 0xbbad, v27
	v_add_f16_e32 v49, v49, v50
	v_add_f16_e32 v42, v51, v42
	v_pk_fma_f16 v50, 0x3853b482, v48, v54 op_sel:[0,0,1] op_sel_hi:[1,1,0]
	v_add_f16_e32 v46, v53, v46
	v_add_f16_e32 v28, v28, v30
	v_pk_fma_f16 v30, 0x3853b482, v48, v54 op_sel:[0,0,1] op_sel_hi:[1,1,0] neg_lo:[0,1,0] neg_hi:[0,1,0]
	v_add_f16_e32 v49, v55, v49
	v_lshrrev_b32_e32 v51, 16, v27
	v_mul_f16_e32 v53, 0x3853, v48
	v_add_f16_e32 v34, v57, v34
	v_mul_f16_sdwa v31, v48, v31 dst_sel:DWORD dst_unused:UNUSED_PAD src0_sel:WORD_1 src1_sel:DWORD
	v_add_f16_e32 v49, v30, v49
	v_bfi_b32 v30, 0xffff, v50, v30
	v_fmamk_f16 v50, v51, 0x3abb, v53
	v_mul_f16_e32 v57, 0xb93d, v51
	v_add_f16_e32 v4, v58, v4
	v_fma_f16 v56, v27, 0xb93d, -v31
	v_pk_add_f16 v30, v30, v32
	v_add_f16_e32 v32, v50, v47
	v_fmamk_f16 v47, v48, 0xba0c, v57
	v_mul_f16_sdwa v50, v48, v52 dst_sel:DWORD dst_unused:UNUSED_PAD src0_sel:WORD_1 src1_sel:DWORD
	v_fmac_f16_e32 v31, 0xb93d, v27
	v_mul_f16_e32 v52, 0x3b47, v48
	v_pk_mul_f16 v36, 0xbbad, v36 op_sel_hi:[0,1]
	v_add_f16_e32 v4, v47, v4
	v_fma_f16 v47, v27, 0x36a6, -v50
	v_add_f16_e32 v29, v31, v29
	v_fmamk_f16 v31, v51, 0x36a6, v52
	v_pk_mul_f16 v38, 0x3abb, v38 op_sel_hi:[0,1]
	v_pk_mul_f16 v40, 0xb93d, v40 op_sel_hi:[0,1]
	v_add_f16_e32 v45, v47, v45
	v_fma_f16 v47, v51, 0x36a6, -v52
	v_add_f16_e32 v5, v31, v5
	v_pk_fma_f16 v31, 0xb482, v2, v36 op_sel:[0,0,1] op_sel_hi:[0,1,0] neg_lo:[0,1,0] neg_hi:[0,1,0]
	v_pk_fma_f16 v2, 0xb482, v2, v36 op_sel:[0,0,1] op_sel_hi:[0,1,0]
	v_pk_fma_f16 v36, 0x3853, v39, v38 op_sel:[0,0,1] op_sel_hi:[0,1,0] neg_lo:[0,1,0] neg_hi:[0,1,0]
	v_add_f16_e32 v42, v47, v42
	v_alignbit_b32 v32, v32, v30, 16
	v_alignbit_b32 v47, s0, v31, 16
	v_pack_b32_f16 v30, v46, v30
	v_pk_fma_f16 v38, 0x3853, v39, v38 op_sel:[0,0,1] op_sel_hi:[0,1,0]
	v_pk_fma_f16 v39, 0xba0c, v6, v40 op_sel:[0,0,1] op_sel_hi:[0,1,0] neg_lo:[0,1,0] neg_hi:[0,1,0]
	v_pk_mul_f16 v35, 0x36a6, v35 op_sel_hi:[0,1]
	v_pk_add_f16 v46, v0, v47
	v_pk_add_f16 v0, v0, v2 op_sel:[1,0] op_sel_hi:[0,1]
	v_alignbit_b32 v2, s0, v36, 16
	v_pk_add_f16 v31, v37, v31
	v_alignbit_b32 v37, s0, v39, 16
	v_pk_fma_f16 v6, 0xba0c, v6, v40 op_sel:[0,0,1] op_sel_hi:[0,1,0]
	v_pk_add_f16 v0, v38, v0
	v_pk_add_f16 v2, v2, v46
	v_pk_fma_f16 v38, 0x3b47, v7, v35 op_sel:[0,0,1] op_sel_hi:[0,1,0] neg_lo:[0,1,0] neg_hi:[0,1,0]
	v_pk_add_f16 v31, v36, v31
	v_fma_f16 v53, v51, 0x3abb, -v53
	v_pk_add_f16 v0, v6, v0
	v_pk_add_f16 v2, v37, v2
	v_alignbit_b32 v6, s0, v38, 16
	v_fmac_f16_e32 v50, 0x36a6, v27
	v_pk_fma_f16 v7, 0x3b47, v7, v35 op_sel:[0,0,1] op_sel_hi:[0,1,0]
	v_pk_mul_f16 v27, 0xb08e, v27 op_sel_hi:[0,1]
	v_pk_add_f16 v31, v39, v31
	v_pk_add_f16 v2, v6, v2
	v_lshlrev_b32_e32 v6, 16, v9
	v_pk_mul_f16 v55, 0x3853b482, v48
	v_add_f16_e32 v41, v53, v41
	v_mul_f16_e32 v53, 0xba0c, v48
	v_add_f16_e32 v43, v56, v43
	v_pk_add_f16 v0, v7, v0
	v_pk_fma_f16 v7, 0xbbeb, v48, v27 op_sel:[0,0,1] op_sel_hi:[0,1,0] neg_lo:[0,1,0] neg_hi:[0,1,0]
	v_pk_add_f16 v6, v8, v6
	v_pk_fma_f16 v8, 0xbbeb, v48, v27 op_sel:[0,0,1] op_sel_hi:[0,1,0]
	v_pk_add_f16 v27, v38, v31
	v_pack_b32_f16 v9, v33, v54
	v_bfi_b32 v33, 0xffff, v44, v55
	v_pk_add_f16 v35, v57, v53 neg_lo:[0,1] neg_hi:[0,1]
	v_pack_b32_f16 v5, v45, v5
	v_pack_b32_f16 v4, v43, v4
	v_alignbit_b32 v31, s0, v7, 16
	v_pk_add_f16 v0, v8, v0
	v_pk_add_f16 v7, v7, v27
	;; [unrolled: 1-line block ×3, first 2 shown]
	v_bfi_b32 v6, 0xffff, v35, v6
	v_pk_add_f16 v2, v31, v2
	ds_write2_b32 v1, v4, v5 offset0:3 offset1:4
	v_alignbit_b32 v4, v7, v0, 16
	v_mul_u32_u24_e32 v7, 10, v21
	v_add_f16_e32 v34, v50, v34
	v_pk_add_f16 v6, v6, v9
	v_pack_b32_f16 v0, v2, v0
	v_pack_b32_f16 v8, v28, v49
	v_lshlrev_b32_e32 v9, 2, v7
	v_pack_b32_f16 v2, v34, v42
	v_alignbit_b32 v5, v41, v6, 16
	v_pack_b32_f16 v6, v29, v6
	ds_write2_b32 v1, v30, v32 offset0:1 offset1:2
	ds_write2_b32 v1, v0, v4 offset0:5 offset1:6
	ds_write2_b32 v1, v3, v2 offset1:7
	ds_write2_b32 v1, v6, v5 offset0:8 offset1:9
	ds_write_b32 v1, v8 offset:40
	s_waitcnt lgkmcnt(0)
	s_barrier
	buffer_gl0_inv
	s_clause 0x2
	global_load_dwordx4 v[0:3], v9, s[26:27]
	global_load_dwordx4 v[4:7], v9, s[26:27] offset:16
	global_load_dwordx2 v[8:9], v9, s[26:27] offset:32
	ds_read2_b32 v[40:41], v24 offset0:55 offset1:66
	ds_read2_b32 v[42:43], v24 offset0:77 offset1:88
	;; [unrolled: 1-line block ×5, first 2 shown]
	ds_read_u16 v56, v24 offset:222
	ds_read_b32 v57, v26
	v_add_nc_u32_e32 v28, 11, v21
	v_add_nc_u32_e32 v29, 22, v21
	v_mul_lo_u32 v31, v25, v21
	v_mov_b32_e32 v27, 2
	v_add_nc_u32_e32 v30, 33, v21
	v_add_nc_u32_e32 v32, 44, v21
	v_mul_lo_u32 v28, v25, v28
	v_mul_lo_u32 v29, v25, v29
	v_add_nc_u32_e32 v33, 55, v21
	v_mul_lo_u32 v50, v25, v30
	v_mul_lo_u32 v51, v25, v32
	v_lshlrev_b32_sdwa v30, v27, v31 dst_sel:DWORD dst_unused:UNUSED_PAD src0_sel:DWORD src1_sel:BYTE_0
	v_lshlrev_b32_sdwa v32, v27, v31 dst_sel:DWORD dst_unused:UNUSED_PAD src0_sel:DWORD src1_sel:BYTE_1
	v_bfe_u32 v31, v31, 16, 8
	v_mul_lo_u32 v52, v25, v33
	v_bfe_u32 v33, v28, 16, 8
	s_waitcnt lgkmcnt(6)
	v_lshrrev_b32_e32 v58, 16, v41
	s_waitcnt lgkmcnt(3)
	v_lshrrev_b32_e32 v39, 16, v46
	v_lshrrev_b32_e32 v60, 16, v43
	;; [unrolled: 1-line block ×3, first 2 shown]
	s_waitcnt lgkmcnt(2)
	v_lshrrev_b32_e32 v65, 16, v49
	v_lshlrev_b32_sdwa v36, v27, v29 dst_sel:DWORD dst_unused:UNUSED_PAD src0_sel:DWORD src1_sel:BYTE_0
	v_lshlrev_b32_sdwa v37, v27, v29 dst_sel:DWORD dst_unused:UNUSED_PAD src0_sel:DWORD src1_sel:BYTE_1
	v_bfe_u32 v53, v29, 16, 8
	v_lshl_or_b32 v29, v31, 2, 0x800
	v_lshrrev_b32_e32 v63, 16, v47
	v_lshlrev_b32_sdwa v35, v27, v28 dst_sel:DWORD dst_unused:UNUSED_PAD src0_sel:DWORD src1_sel:BYTE_0
	v_lshlrev_b32_sdwa v28, v27, v28 dst_sel:DWORD dst_unused:UNUSED_PAD src0_sel:DWORD src1_sel:BYTE_1
	v_lshl_or_b32 v38, v33, 2, 0x800
	s_clause 0x7
	global_load_dword v33, v30, s[12:13]
	global_load_dword v34, v32, s[12:13] offset:1024
	global_load_dword v30, v29, s[12:13]
	global_load_dword v31, v35, s[12:13]
	global_load_dword v32, v28, s[12:13] offset:1024
	global_load_dword v29, v38, s[12:13]
	global_load_dword v26, v36, s[12:13]
	global_load_dword v28, v37, s[12:13] offset:1024
	v_lshrrev_b32_e32 v59, 16, v42
	v_lshrrev_b32_e32 v61, 16, v44
	;; [unrolled: 1-line block ×3, first 2 shown]
	v_bfe_u32 v55, v50, 16, 8
	v_lshlrev_b32_sdwa v54, v27, v50 dst_sel:DWORD dst_unused:UNUSED_PAD src0_sel:DWORD src1_sel:BYTE_0
	v_lshl_or_b32 v53, v53, 2, 0x800
	v_lshlrev_b32_sdwa v87, v27, v85 dst_sel:DWORD dst_unused:UNUSED_PAD src0_sel:DWORD src1_sel:BYTE_0
	s_waitcnt vmcnt(10)
	v_mul_f16_sdwa v66, v0, v39 dst_sel:DWORD dst_unused:UNUSED_PAD src0_sel:WORD_1 src1_sel:DWORD
	v_mul_f16_sdwa v67, v0, v46 dst_sel:DWORD dst_unused:UNUSED_PAD src0_sel:WORD_1 src1_sel:DWORD
	s_waitcnt vmcnt(8)
	v_mul_f16_sdwa v81, v45, v9 dst_sel:DWORD dst_unused:UNUSED_PAD src0_sel:DWORD src1_sel:WORD_1
	v_mul_f16_sdwa v72, v3, v65 dst_sel:DWORD dst_unused:UNUSED_PAD src0_sel:WORD_1 src1_sel:DWORD
	v_mul_f16_sdwa v37, v3, v49 dst_sel:DWORD dst_unused:UNUSED_PAD src0_sel:WORD_1 src1_sel:DWORD
	s_waitcnt lgkmcnt(1)
	v_mul_f16_sdwa v73, v56, v4 dst_sel:DWORD dst_unused:UNUSED_PAD src0_sel:DWORD src1_sel:WORD_1
	v_mul_f16_sdwa v35, v4, v40 dst_sel:DWORD dst_unused:UNUSED_PAD src0_sel:WORD_1 src1_sel:DWORD
	v_mul_f16_sdwa v74, v58, v5 dst_sel:DWORD dst_unused:UNUSED_PAD src0_sel:DWORD src1_sel:WORD_1
	v_mul_f16_sdwa v76, v60, v7 dst_sel:DWORD dst_unused:UNUSED_PAD src0_sel:DWORD src1_sel:WORD_1
	;; [unrolled: 1-line block ×3, first 2 shown]
	v_mul_f16_sdwa v68, v1, v63 dst_sel:DWORD dst_unused:UNUSED_PAD src0_sel:WORD_1 src1_sel:DWORD
	v_mul_f16_sdwa v69, v1, v47 dst_sel:DWORD dst_unused:UNUSED_PAD src0_sel:WORD_1 src1_sel:DWORD
	v_mul_f16_sdwa v77, v43, v7 dst_sel:DWORD dst_unused:UNUSED_PAD src0_sel:DWORD src1_sel:WORD_1
	v_mul_f16_sdwa v79, v44, v8 dst_sel:DWORD dst_unused:UNUSED_PAD src0_sel:DWORD src1_sel:WORD_1
	v_fma_f16 v46, v0, v46, -v66
	v_fmac_f16_e32 v67, v0, v39
	v_fmac_f16_e32 v81, v62, v9
	v_mul_f16_sdwa v36, v41, v5 dst_sel:DWORD dst_unused:UNUSED_PAD src0_sel:DWORD src1_sel:WORD_1
	v_mul_f16_sdwa v75, v59, v6 dst_sel:DWORD dst_unused:UNUSED_PAD src0_sel:DWORD src1_sel:WORD_1
	;; [unrolled: 1-line block ×4, first 2 shown]
	v_fma_f16 v39, v3, v49, -v72
	v_fmac_f16_e32 v37, v3, v65
	v_fma_f16 v3, v4, v40, -v73
	v_fmac_f16_e32 v35, v56, v4
	v_fma_f16 v4, v41, v5, -v74
	v_fma_f16 v41, v43, v7, -v76
	;; [unrolled: 1-line block ×3, first 2 shown]
	v_mul_f16_sdwa v70, v2, v64 dst_sel:DWORD dst_unused:UNUSED_PAD src0_sel:WORD_1 src1_sel:DWORD
	v_mul_f16_sdwa v71, v2, v48 dst_sel:DWORD dst_unused:UNUSED_PAD src0_sel:WORD_1 src1_sel:DWORD
	v_fma_f16 v47, v1, v47, -v68
	v_fmac_f16_e32 v69, v1, v63
	v_fmac_f16_e32 v77, v60, v7
	;; [unrolled: 1-line block ×3, first 2 shown]
	s_waitcnt lgkmcnt(0)
	v_add_f16_e32 v0, v46, v57
	v_sub_f16_e32 v7, v67, v81
	v_fma_f16 v40, v42, v6, -v75
	v_fmac_f16_e32 v38, v59, v6
	v_fma_f16 v42, v44, v8, -v78
	v_add_f16_sdwa v1, v67, v57 dst_sel:DWORD dst_unused:UNUSED_PAD src0_sel:DWORD src1_sel:WORD_1
	v_sub_f16_e32 v6, v46, v43
	v_fma_f16 v48, v2, v48, -v70
	v_fmac_f16_e32 v71, v2, v64
	v_add_f16_e32 v2, v46, v43
	v_sub_f16_e32 v45, v69, v79
	v_add_f16_e32 v46, v0, v47
	v_mul_f16_e32 v0, 0xb853, v7
	v_fmac_f16_e32 v36, v58, v5
	v_add_f16_e32 v5, v67, v81
	v_add_f16_e32 v8, v47, v42
	v_sub_f16_e32 v44, v47, v42
	v_add_f16_e32 v47, v1, v69
	v_mul_f16_e32 v1, 0xb853, v6
	v_mul_f16_e32 v49, 0xbb47, v7
	;; [unrolled: 1-line block ×10, first 2 shown]
	v_fma_f16 v66, v2, 0x3abb, -v0
	v_fmac_f16_e32 v0, 0x3abb, v2
	v_fmamk_f16 v67, v5, 0x3abb, v1
	v_fma_f16 v1, v5, 0x3abb, -v1
	v_fma_f16 v68, v2, 0x36a6, -v49
	v_fmac_f16_e32 v49, 0x36a6, v2
	v_fma_f16 v70, v2, 0xb08e, -v58
	v_fmac_f16_e32 v58, 0xb08e, v2
	;; [unrolled: 2-line block ×4, first 2 shown]
	v_fmamk_f16 v2, v5, 0xbbad, v6
	v_add_f16_e32 v9, v69, v79
	v_fmamk_f16 v69, v5, 0x36a6, v56
	v_fma_f16 v56, v5, 0x36a6, -v56
	v_fmamk_f16 v72, v5, 0xb08e, v59
	v_fma_f16 v59, v5, 0xb08e, -v59
	;; [unrolled: 2-line block ×3, first 2 shown]
	v_fma_f16 v5, v5, 0xbbad, -v6
	v_fma_f16 v6, v8, 0x36a6, -v62
	v_add_f16_e32 v66, v66, v57
	v_add_f16_e32 v78, v0, v57
	v_bfe_u32 v0, v51, 16, 8
	v_add_f16_sdwa v80, v1, v57 dst_sel:DWORD dst_unused:UNUSED_PAD src0_sel:DWORD src1_sel:WORD_1
	v_lshlrev_b32_sdwa v1, v27, v50 dst_sel:DWORD dst_unused:UNUSED_PAD src0_sel:DWORD src1_sel:BYTE_1
	v_add_f16_sdwa v82, v2, v57 dst_sel:DWORD dst_unused:UNUSED_PAD src0_sel:DWORD src1_sel:WORD_1
	v_lshl_or_b32 v2, v55, 2, 0x800
	v_add_f16_e32 v66, v6, v66
	v_lshlrev_b32_sdwa v6, v27, v51 dst_sel:DWORD dst_unused:UNUSED_PAD src0_sel:DWORD src1_sel:BYTE_0
	v_add_f16_e32 v83, v7, v57
	v_lshlrev_b32_sdwa v7, v27, v51 dst_sel:DWORD dst_unused:UNUSED_PAD src0_sel:DWORD src1_sel:BYTE_1
	v_mul_f16_e32 v63, 0xbb47, v44
	v_lshl_or_b32 v50, v0, 2, 0x800
	v_lshlrev_b32_sdwa v51, v27, v52 dst_sel:DWORD dst_unused:UNUSED_PAD src0_sel:DWORD src1_sel:BYTE_0
	v_add_f16_sdwa v67, v67, v57 dst_sel:DWORD dst_unused:UNUSED_PAD src0_sel:DWORD src1_sel:WORD_1
	v_add_f16_e32 v68, v68, v57
	v_add_f16_sdwa v69, v69, v57 dst_sel:DWORD dst_unused:UNUSED_PAD src0_sel:DWORD src1_sel:WORD_1
	v_add_f16_e32 v49, v49, v57
	;; [unrolled: 2-line block ×7, first 2 shown]
	v_add_f16_sdwa v57, v5, v57 dst_sel:DWORD dst_unused:UNUSED_PAD src0_sel:DWORD src1_sel:WORD_1
	s_clause 0x7
	global_load_dword v5, v1, s[12:13] offset:1024
	global_load_dword v2, v2, s[12:13]
	global_load_dword v0, v6, s[12:13]
	global_load_dword v1, v7, s[12:13] offset:1024
	global_load_dword v6, v50, s[12:13]
	global_load_dword v7, v51, s[12:13]
	;; [unrolled: 1-line block ×4, first 2 shown]
	v_mul_f16_e32 v64, 0xba0c, v45
	v_fmamk_f16 v76, v9, 0x36a6, v63
	v_mul_f16_e32 v65, 0xba0c, v44
	v_fma_f16 v53, v9, 0x36a6, -v63
	v_add_f16_e32 v46, v46, v48
	v_fma_f16 v54, v8, 0xb93d, -v64
	v_add_f16_e32 v55, v76, v67
	v_mul_f16_e32 v67, 0x3482, v45
	v_fmac_f16_e32 v64, 0xb93d, v8
	v_fmamk_f16 v63, v9, 0xb93d, v65
	v_add_f16_e32 v54, v54, v68
	v_mul_f16_e32 v68, 0x3482, v44
	v_fma_f16 v65, v9, 0xb93d, -v65
	v_add_f16_e32 v49, v64, v49
	v_fma_f16 v64, v8, 0xbbad, -v67
	v_fmac_f16_e32 v67, 0xbbad, v8
	v_add_nc_u32_e32 v76, 0x42, v21
	v_add_f16_e32 v56, v65, v56
	v_fmamk_f16 v65, v9, 0xbbad, v68
	v_fma_f16 v68, v9, 0xbbad, -v68
	v_add_f16_e32 v58, v67, v58
	v_lshlrev_b32_sdwa v67, v27, v52 dst_sel:DWORD dst_unused:UNUSED_PAD src0_sel:DWORD src1_sel:BYTE_1
	v_bfe_u32 v52, v52, 16, 8
	v_add_f16_e32 v63, v63, v69
	v_mul_f16_e32 v69, 0x3beb, v45
	v_add_f16_e32 v59, v68, v59
	global_load_dword v67, v67, s[12:13] offset:1024
	v_add_nc_u32_e32 v68, 0x4d, v21
	v_mul_lo_u32 v76, v25, v76
	v_add_f16_e32 v46, v46, v39
	v_fmac_f16_e32 v62, 0x36a6, v8
	v_add_f16_e32 v47, v47, v71
	v_add_f16_e32 v64, v64, v70
	v_mul_f16_e32 v70, 0x3beb, v44
	v_lshl_or_b32 v52, v52, 2, 0x800
	v_add_f16_e32 v65, v65, v72
	v_fma_f16 v72, v8, 0xb08e, -v69
	v_mul_lo_u32 v68, v25, v68
	v_add_f16_e32 v46, v46, v3
	global_load_dword v52, v52, s[12:13]
	v_add_f16_e32 v62, v62, v78
	v_add_f16_e32 v47, v47, v37
	v_fmamk_f16 v78, v9, 0xb08e, v70
	v_add_f16_e32 v72, v72, v73
	v_lshlrev_b32_sdwa v73, v27, v76 dst_sel:DWORD dst_unused:UNUSED_PAD src0_sel:DWORD src1_sel:BYTE_0
	v_add_f16_e32 v53, v53, v80
	v_lshlrev_b32_sdwa v80, v27, v76 dst_sel:DWORD dst_unused:UNUSED_PAD src0_sel:DWORD src1_sel:BYTE_1
	v_add_f16_e32 v46, v46, v4
	v_add_f16_e32 v47, v47, v35
	;; [unrolled: 1-line block ×3, first 2 shown]
	v_lshlrev_b32_sdwa v78, v27, v68 dst_sel:DWORD dst_unused:UNUSED_PAD src0_sel:DWORD src1_sel:BYTE_0
	s_clause 0x1
	global_load_dword v73, v73, s[12:13]
	global_load_dword v80, v80, s[12:13] offset:1024
	v_add_f16_e32 v46, v46, v40
	v_add_f16_e32 v47, v47, v36
	v_lshlrev_b32_sdwa v84, v27, v68 dst_sel:DWORD dst_unused:UNUSED_PAD src0_sel:DWORD src1_sel:BYTE_1
	v_bfe_u32 v68, v68, 16, 8
	global_load_dword v78, v78, s[12:13]
	v_bfe_u32 v76, v76, 16, 8
	v_add_f16_e32 v46, v46, v41
	global_load_dword v84, v84, s[12:13] offset:1024
	v_add_f16_e32 v47, v47, v38
	v_lshl_or_b32 v68, v68, 2, 0x800
	v_lshl_or_b32 v76, v76, 2, 0x800
	v_add_f16_e32 v42, v46, v42
	v_add_nc_u32_e32 v46, 0x63, v21
	v_add_f16_e32 v47, v47, v77
	s_clause 0x1
	global_load_dword v68, v68, s[12:13]
	global_load_dword v76, v76, s[12:13]
	v_fmac_f16_e32 v69, 0xb08e, v8
	v_add_f16_e32 v42, v42, v43
	v_mul_lo_u32 v46, v25, v46
	v_add_f16_e32 v47, v47, v79
	global_load_dword v79, v87, s[12:13]
	v_add_f16_e32 v60, v69, v60
	v_lshlrev_b32_sdwa v69, v27, v85 dst_sel:DWORD dst_unused:UNUSED_PAD src0_sel:DWORD src1_sel:BYTE_1
	v_mul_lo_u32 v25, v25, v86
	v_bfe_u32 v43, v85, 16, 8
	v_mul_f16_e32 v45, 0x3853, v45
	v_bfe_u32 v85, v46, 16, 8
	global_load_dword v69, v69, s[12:13] offset:1024
	v_lshlrev_b32_sdwa v86, v27, v46 dst_sel:DWORD dst_unused:UNUSED_PAD src0_sel:DWORD src1_sel:BYTE_0
	v_lshlrev_b32_sdwa v46, v27, v46 dst_sel:DWORD dst_unused:UNUSED_PAD src0_sel:DWORD src1_sel:BYTE_1
	v_lshl_or_b32 v43, v43, 2, 0x800
	v_lshlrev_b32_sdwa v87, v27, v25 dst_sel:DWORD dst_unused:UNUSED_PAD src0_sel:DWORD src1_sel:BYTE_1
	v_lshl_or_b32 v85, v85, 2, 0x800
	v_lshlrev_b32_sdwa v27, v27, v25 dst_sel:DWORD dst_unused:UNUSED_PAD src0_sel:DWORD src1_sel:BYTE_0
	s_clause 0x5
	global_load_dword v46, v46, s[12:13] offset:1024
	global_load_dword v87, v87, s[12:13] offset:1024
	global_load_dword v85, v85, s[12:13]
	global_load_dword v86, v86, s[12:13]
	;; [unrolled: 1-line block ×4, first 2 shown]
	v_bfe_u32 v25, v25, 16, 8
	v_fma_f16 v70, v9, 0xb08e, -v70
	v_add_f16_e32 v47, v47, v81
	v_fma_f16 v81, v8, 0x3abb, -v45
	v_mul_f16_e32 v44, 0x3853, v44
	v_lshl_or_b32 v25, v25, 2, 0x800
	v_add_f16_e32 v61, v70, v61
	v_fmac_f16_e32 v45, 0x3abb, v8
	v_add_f16_e32 v70, v81, v75
	v_sub_f16_e32 v75, v71, v77
	global_load_dword v25, v25, s[12:13]
	v_fmamk_f16 v81, v9, 0x3abb, v44
	v_sub_f16_e32 v8, v48, v41
	v_add_f16_e32 v41, v48, v41
	v_mul_f16_e32 v48, 0xbbeb, v75
	v_fma_f16 v9, v9, 0x3abb, -v44
	v_add_f16_e32 v44, v71, v77
	v_mul_f16_e32 v71, 0xbbeb, v8
	v_add_f16_e32 v77, v81, v82
	v_fma_f16 v81, v41, 0xb08e, -v48
	v_add_f16_e32 v9, v9, v57
	v_mul_f16_e32 v82, 0x3482, v75
	v_fmamk_f16 v57, v44, 0xb08e, v71
	v_fmac_f16_e32 v48, 0xb08e, v41
	v_add_f16_e32 v66, v81, v66
	v_fma_f16 v71, v44, 0xb08e, -v71
	v_mul_f16_e32 v81, 0x3482, v8
	v_add_f16_e32 v55, v57, v55
	v_fma_f16 v57, v41, 0xbbad, -v82
	v_add_f16_e32 v48, v48, v62
	v_add_f16_e32 v53, v71, v53
	v_mul_f16_e32 v62, 0x3b47, v75
	v_fma_f16 v71, v44, 0xbbad, -v81
	v_add_f16_e32 v54, v57, v54
	v_fmamk_f16 v57, v44, 0xbbad, v81
	v_add_f16_e32 v45, v45, v83
	v_fma_f16 v81, v41, 0x36a6, -v62
	v_add_f16_e32 v56, v71, v56
	v_fmac_f16_e32 v62, 0x36a6, v41
	v_mul_f16_e32 v71, 0xb853, v75
	v_mul_f16_e32 v75, 0xba0c, v75
	v_fmac_f16_e32 v82, 0xbbad, v41
	v_mul_f16_e32 v83, 0x3b47, v8
	v_add_f16_e32 v58, v62, v58
	v_fma_f16 v62, v41, 0x3abb, -v71
	v_fmac_f16_e32 v71, 0x3abb, v41
	v_add_f16_e32 v57, v57, v63
	v_add_f16_e32 v49, v82, v49
	;; [unrolled: 1-line block ×4, first 2 shown]
	v_fma_f16 v72, v41, 0xb93d, -v75
	v_add_f16_e32 v60, v71, v60
	v_sub_f16_e32 v71, v37, v38
	v_fmamk_f16 v64, v44, 0x36a6, v83
	v_fma_f16 v81, v44, 0x36a6, -v83
	v_mul_f16_e32 v82, 0xb853, v8
	v_mul_f16_e32 v8, 0xba0c, v8
	v_add_f16_e32 v70, v72, v70
	v_add_f16_e32 v72, v39, v40
	v_sub_f16_e32 v39, v39, v40
	v_mul_f16_e32 v40, 0xba0c, v71
	v_add_f16_e32 v64, v64, v65
	v_add_f16_e32 v59, v81, v59
	v_fmamk_f16 v65, v44, 0x3abb, v82
	v_fma_f16 v81, v44, 0x3abb, -v82
	v_fmac_f16_e32 v75, 0xb93d, v41
	v_fmamk_f16 v41, v44, 0xb93d, v8
	v_fma_f16 v8, v44, 0xb93d, -v8
	v_add_f16_e32 v37, v37, v38
	v_mul_f16_e32 v38, 0xba0c, v39
	v_fma_f16 v44, v72, 0xb93d, -v40
	v_fmac_f16_e32 v40, 0xb93d, v72
	v_add_f16_e32 v8, v8, v9
	v_add_f16_e32 v65, v65, v74
	v_fmamk_f16 v9, v37, 0xb93d, v38
	v_add_f16_e32 v44, v44, v66
	v_mul_f16_e32 v66, 0x3beb, v71
	v_fma_f16 v38, v37, 0xb93d, -v38
	v_add_f16_e32 v40, v40, v48
	v_add_f16_e32 v9, v9, v55
	v_mul_f16_e32 v55, 0x3beb, v39
	v_fma_f16 v74, v72, 0xb08e, -v66
	v_mul_f16_e32 v48, 0xb853, v71
	v_add_f16_e32 v38, v38, v53
	v_fmac_f16_e32 v66, 0xb08e, v72
	v_fmamk_f16 v53, v37, 0xb08e, v55
	v_add_f16_e32 v54, v74, v54
	v_fma_f16 v55, v37, 0xb08e, -v55
	v_fma_f16 v74, v72, 0x3abb, -v48
	v_add_f16_e32 v45, v75, v45
	v_add_f16_e32 v53, v53, v57
	v_mul_f16_e32 v57, 0xb853, v39
	v_add_f16_e32 v55, v55, v56
	v_add_f16_e32 v56, v74, v63
	v_mul_f16_e32 v63, 0xb482, v71
	v_add_f16_e32 v49, v66, v49
	v_fmamk_f16 v66, v37, 0x3abb, v57
	v_fmac_f16_e32 v48, 0x3abb, v72
	v_mul_f16_e32 v74, 0xb482, v39
	v_fma_f16 v57, v37, 0x3abb, -v57
	v_fma_f16 v75, v72, 0xbbad, -v63
	v_fmac_f16_e32 v63, 0xbbad, v72
	v_add_f16_e32 v48, v48, v58
	v_fmamk_f16 v58, v37, 0xbbad, v74
	v_add_f16_e32 v57, v57, v59
	v_add_f16_e32 v59, v75, v62
	v_mul_f16_e32 v62, 0x3b47, v71
	v_add_f16_e32 v61, v81, v61
	v_add_f16_e32 v64, v66, v64
	;; [unrolled: 1-line block ×3, first 2 shown]
	v_fma_f16 v65, v37, 0xbbad, -v74
	v_fma_f16 v66, v72, 0x36a6, -v62
	v_add_f16_e32 v60, v63, v60
	v_sub_f16_e32 v63, v35, v36
	v_mul_f16_e32 v39, 0x3b47, v39
	v_add_f16_e32 v61, v65, v61
	v_add_f16_e32 v65, v66, v70
	;; [unrolled: 1-line block ×3, first 2 shown]
	v_mul_f16_e32 v70, 0xb482, v63
	v_fmamk_f16 v71, v37, 0x36a6, v39
	v_sub_f16_e32 v3, v3, v4
	v_fma_f16 v4, v37, 0x36a6, -v39
	v_fmac_f16_e32 v62, 0x36a6, v72
	v_fma_f16 v37, v66, 0xbbad, -v70
	v_add_f16_e32 v35, v35, v36
	v_mul_f16_e32 v36, 0xb482, v3
	v_add_f16_e32 v4, v4, v8
	v_add_f16_e32 v39, v62, v45
	;; [unrolled: 1-line block ×3, first 2 shown]
	v_mul_f16_e32 v37, 0x3853, v63
	v_fmamk_f16 v44, v35, 0xbbad, v36
	v_mul_f16_e32 v45, 0x3853, v3
	v_fma_f16 v36, v35, 0xbbad, -v36
	v_fmac_f16_e32 v70, 0xbbad, v66
	v_fma_f16 v62, v66, 0x3abb, -v37
	v_add_f16_e32 v9, v44, v9
	v_fmamk_f16 v44, v35, 0x3abb, v45
	v_add_f16_e32 v36, v36, v38
	v_fmac_f16_e32 v37, 0x3abb, v66
	v_add_f16_e32 v38, v62, v54
	v_mul_f16_e32 v54, 0xba0c, v63
	v_add_f16_e32 v44, v44, v53
	v_mul_f16_e32 v62, 0xba0c, v3
	v_fma_f16 v45, v35, 0x3abb, -v45
	v_add_f16_e32 v37, v37, v49
	v_fma_f16 v53, v66, 0xb93d, -v54
	v_fmac_f16_e32 v54, 0xb93d, v66
	v_add_f16_e32 v40, v70, v40
	v_fmamk_f16 v70, v35, 0xb93d, v62
	v_add_f16_e32 v45, v45, v55
	v_add_f16_e32 v49, v53, v56
	v_mul_f16_e32 v53, 0x3b47, v63
	v_mul_f16_e32 v55, 0x3b47, v3
	v_fma_f16 v56, v35, 0xb93d, -v62
	v_add_f16_e32 v48, v54, v48
	v_add_f16_e32 v62, v70, v64
	v_fma_f16 v54, v66, 0x36a6, -v53
	v_fmamk_f16 v64, v35, 0x36a6, v55
	v_add_f16_e32 v56, v56, v57
	v_fmac_f16_e32 v53, 0x36a6, v66
	s_waitcnt vmcnt(32)
	v_lshrrev_b32_e32 v57, 16, v33
	v_add_f16_e32 v54, v54, v59
	s_waitcnt vmcnt(31)
	v_mul_f16_sdwa v59, v33, v34 dst_sel:DWORD dst_unused:UNUSED_PAD src0_sel:DWORD src1_sel:WORD_1
	v_add_f16_e32 v58, v64, v58
	v_fma_f16 v55, v35, 0x36a6, -v55
	v_mul_f16_sdwa v64, v57, v34 dst_sel:DWORD dst_unused:UNUSED_PAD src0_sel:DWORD src1_sel:WORD_1
	v_add_f16_e32 v53, v53, v60
	s_waitcnt vmcnt(29)
	v_lshrrev_b32_e32 v60, 16, v31
	v_fmac_f16_e32 v59, v57, v34
	v_add_f16_e32 v55, v55, v61
	v_fma_f16 v33, v33, v34, -v64
	s_waitcnt vmcnt(28)
	v_mul_f16_sdwa v34, v31, v32 dst_sel:DWORD dst_unused:UNUSED_PAD src0_sel:DWORD src1_sel:WORD_1
	v_mul_f16_sdwa v57, v60, v32 dst_sel:DWORD dst_unused:UNUSED_PAD src0_sel:DWORD src1_sel:WORD_1
	;; [unrolled: 1-line block ×3, first 2 shown]
	v_mul_f16_e32 v63, 0xbbeb, v63
	v_mul_f16_sdwa v64, v33, v30 dst_sel:DWORD dst_unused:UNUSED_PAD src0_sel:DWORD src1_sel:WORD_1
	v_fmac_f16_e32 v34, v60, v32
	v_fma_f16 v31, v31, v32, -v57
	v_fma_f16 v32, v30, v33, -v61
	s_waitcnt vmcnt(26)
	v_lshrrev_b32_e32 v33, 16, v26
	v_fmac_f16_e32 v64, v30, v59
	v_mul_f16_sdwa v30, v34, v29 dst_sel:DWORD dst_unused:UNUSED_PAD src0_sel:DWORD src1_sel:WORD_1
	v_mul_f16_sdwa v57, v31, v29 dst_sel:DWORD dst_unused:UNUSED_PAD src0_sel:DWORD src1_sel:WORD_1
	s_waitcnt vmcnt(25)
	v_mul_f16_sdwa v61, v26, v28 dst_sel:DWORD dst_unused:UNUSED_PAD src0_sel:DWORD src1_sel:WORD_1
	v_mul_f16_sdwa v60, v33, v28 dst_sel:DWORD dst_unused:UNUSED_PAD src0_sel:DWORD src1_sel:WORD_1
	v_fma_f16 v59, v66, 0xb08e, -v63
	v_fma_f16 v30, v29, v31, -v30
	v_fmac_f16_e32 v57, v29, v34
	v_mul_f16_e32 v29, v47, v64
	v_fma_f16 v26, v26, v28, -v60
	v_fmac_f16_e32 v61, v33, v28
	v_mul_f16_e32 v31, v42, v64
	v_add_f16_e32 v28, v59, v65
	v_fma_f16 v29, v42, v32, -v29
	v_mul_f16_e32 v3, 0xbbeb, v3
	v_fmac_f16_e32 v63, 0xb08e, v66
	v_fmac_f16_e32 v31, v47, v32
	v_mul_f16_e32 v47, v9, v57
	v_add_f16_e32 v41, v41, v77
	s_waitcnt vmcnt(0)
	s_barrier
	buffer_gl0_inv
	v_add_f16_e32 v41, v71, v41
	v_lshrrev_b32_e32 v33, 16, v50
	v_mul_f16_sdwa v34, v26, v51 dst_sel:DWORD dst_unused:UNUSED_PAD src0_sel:DWORD src1_sel:WORD_1
	v_mul_f16_sdwa v42, v50, v5 dst_sel:DWORD dst_unused:UNUSED_PAD src0_sel:DWORD src1_sel:WORD_1
	;; [unrolled: 1-line block ×4, first 2 shown]
	v_fmac_f16_e32 v34, v51, v61
	v_fmac_f16_e32 v42, v33, v5
	v_fma_f16 v26, v51, v26, -v59
	v_fma_f16 v32, v50, v5, -v32
	v_mul_f16_e32 v50, v8, v57
	v_fmamk_f16 v5, v35, 0xb08e, v3
	v_fma_f16 v3, v35, 0xb08e, -v3
	v_mul_f16_sdwa v33, v42, v2 dst_sel:DWORD dst_unused:UNUSED_PAD src0_sel:DWORD src1_sel:WORD_1
	v_mul_f16_e32 v35, v44, v34
	v_fmac_f16_e32 v50, v9, v30
	v_mul_f16_sdwa v9, v32, v2 dst_sel:DWORD dst_unused:UNUSED_PAD src0_sel:DWORD src1_sel:WORD_1
	v_mul_f16_e32 v34, v38, v34
	v_fma_f16 v8, v8, v30, -v47
	v_add_f16_e32 v30, v63, v39
	v_lshrrev_b32_e32 v39, 16, v0
	v_fmac_f16_e32 v9, v2, v42
	v_fma_f16 v2, v2, v32, -v33
	v_fma_f16 v32, v38, v26, -v35
	v_fmac_f16_e32 v34, v44, v26
	v_lshrrev_b32_e32 v26, 16, v7
	v_mul_f16_sdwa v33, v39, v1 dst_sel:DWORD dst_unused:UNUSED_PAD src0_sel:DWORD src1_sel:WORD_1
	v_mul_f16_sdwa v35, v0, v1 dst_sel:DWORD dst_unused:UNUSED_PAD src0_sel:DWORD src1_sel:WORD_1
	v_add_f16_e32 v3, v3, v4
	v_mul_f16_sdwa v38, v7, v67 dst_sel:DWORD dst_unused:UNUSED_PAD src0_sel:DWORD src1_sel:WORD_1
	v_mul_f16_sdwa v4, v26, v67 dst_sel:DWORD dst_unused:UNUSED_PAD src0_sel:DWORD src1_sel:WORD_1
	v_fma_f16 v0, v0, v1, -v33
	v_fmac_f16_e32 v35, v39, v1
	v_mul_f16_e32 v33, v62, v9
	v_mul_f16_e32 v9, v49, v9
	v_fma_f16 v4, v7, v67, -v4
	v_mul_f16_sdwa v1, v0, v6 dst_sel:DWORD dst_unused:UNUSED_PAD src0_sel:DWORD src1_sel:WORD_1
	v_mul_f16_sdwa v7, v35, v6 dst_sel:DWORD dst_unused:UNUSED_PAD src0_sel:DWORD src1_sel:WORD_1
	v_fmac_f16_e32 v38, v26, v67
	v_add_f16_e32 v5, v5, v41
	v_mul_f16_sdwa v26, v4, v52 dst_sel:DWORD dst_unused:UNUSED_PAD src0_sel:DWORD src1_sel:WORD_1
	v_fma_f16 v33, v49, v2, -v33
	v_fmac_f16_e32 v1, v6, v35
	v_fma_f16 v0, v6, v0, -v7
	v_fmac_f16_e32 v9, v62, v2
	v_mul_f16_sdwa v2, v38, v52 dst_sel:DWORD dst_unused:UNUSED_PAD src0_sel:DWORD src1_sel:WORD_1
	v_fmac_f16_e32 v26, v52, v38
	v_mul_f16_e32 v6, v58, v1
	v_mul_f16_e32 v1, v54, v1
	v_pack_b32_f16 v8, v8, v50
	v_fma_f16 v2, v52, v4, -v2
	v_lshrrev_b32_e32 v7, 16, v73
	v_mul_f16_e32 v4, v5, v26
	v_mul_f16_sdwa v39, v73, v80 dst_sel:DWORD dst_unused:UNUSED_PAD src0_sel:DWORD src1_sel:WORD_1
	v_fma_f16 v6, v54, v0, -v6
	v_fmac_f16_e32 v1, v58, v0
	v_mul_f16_sdwa v35, v7, v80 dst_sel:DWORD dst_unused:UNUSED_PAD src0_sel:DWORD src1_sel:WORD_1
	v_lshrrev_b32_e32 v38, 16, v78
	v_fma_f16 v0, v28, v2, -v4
	v_fmac_f16_e32 v39, v7, v80
	v_mul_f16_sdwa v7, v78, v84 dst_sel:DWORD dst_unused:UNUSED_PAD src0_sel:DWORD src1_sel:WORD_1
	v_fma_f16 v4, v73, v80, -v35
	v_mul_f16_sdwa v35, v38, v84 dst_sel:DWORD dst_unused:UNUSED_PAD src0_sel:DWORD src1_sel:WORD_1
	v_mul_f16_e32 v26, v28, v26
	v_pack_b32_f16 v9, v33, v9
	v_fmac_f16_e32 v7, v38, v84
	v_pack_b32_f16 v1, v6, v1
	v_mul_f16_sdwa v28, v4, v76 dst_sel:DWORD dst_unused:UNUSED_PAD src0_sel:DWORD src1_sel:WORD_1
	v_fma_f16 v35, v78, v84, -v35
	v_mul_f16_sdwa v41, v39, v76 dst_sel:DWORD dst_unused:UNUSED_PAD src0_sel:DWORD src1_sel:WORD_1
	v_fmac_f16_e32 v26, v5, v2
	v_mul_f16_sdwa v5, v7, v68 dst_sel:DWORD dst_unused:UNUSED_PAD src0_sel:DWORD src1_sel:WORD_1
	v_fmac_f16_e32 v28, v76, v39
	v_mul_f16_sdwa v2, v35, v68 dst_sel:DWORD dst_unused:UNUSED_PAD src0_sel:DWORD src1_sel:WORD_1
	v_lshrrev_b32_e32 v38, 16, v79
	v_fma_f16 v4, v76, v4, -v41
	v_fma_f16 v5, v68, v35, -v5
	v_mul_f16_e32 v39, v3, v28
	v_fmac_f16_e32 v2, v68, v7
	v_mul_f16_e32 v7, v30, v28
	v_mul_f16_sdwa v28, v38, v69 dst_sel:DWORD dst_unused:UNUSED_PAD src0_sel:DWORD src1_sel:WORD_1
	v_mul_f16_sdwa v35, v79, v69 dst_sel:DWORD dst_unused:UNUSED_PAD src0_sel:DWORD src1_sel:WORD_1
	v_fma_f16 v30, v30, v4, -v39
	v_mul_f16_e32 v41, v55, v2
	v_fmac_f16_e32 v7, v3, v4
	v_fma_f16 v3, v79, v69, -v28
	v_fmac_f16_e32 v35, v38, v69
	v_mul_f16_e32 v2, v53, v2
	v_lshrrev_b32_e32 v28, 16, v86
	v_fma_f16 v4, v53, v5, -v41
	v_mul_f16_sdwa v38, v3, v43 dst_sel:DWORD dst_unused:UNUSED_PAD src0_sel:DWORD src1_sel:WORD_1
	v_lshrrev_b32_e32 v41, 16, v27
	v_mul_f16_sdwa v39, v35, v43 dst_sel:DWORD dst_unused:UNUSED_PAD src0_sel:DWORD src1_sel:WORD_1
	v_fmac_f16_e32 v2, v55, v5
	v_mul_f16_sdwa v5, v28, v46 dst_sel:DWORD dst_unused:UNUSED_PAD src0_sel:DWORD src1_sel:WORD_1
	v_fmac_f16_e32 v38, v43, v35
	v_mul_f16_sdwa v35, v41, v87 dst_sel:DWORD dst_unused:UNUSED_PAD src0_sel:DWORD src1_sel:WORD_1
	v_fma_f16 v3, v43, v3, -v39
	v_mul_f16_sdwa v39, v86, v46 dst_sel:DWORD dst_unused:UNUSED_PAD src0_sel:DWORD src1_sel:WORD_1
	v_fma_f16 v5, v86, v46, -v5
	;; [unrolled: 2-line block ×3, first 2 shown]
	v_mul_f16_e32 v42, v56, v38
	v_fmac_f16_e32 v39, v28, v46
	v_mul_f16_sdwa v28, v5, v85 dst_sel:DWORD dst_unused:UNUSED_PAD src0_sel:DWORD src1_sel:WORD_1
	v_fmac_f16_e32 v43, v41, v87
	v_mul_f16_sdwa v41, v27, v25 dst_sel:DWORD dst_unused:UNUSED_PAD src0_sel:DWORD src1_sel:WORD_1
	v_fma_f16 v35, v48, v3, -v42
	v_mul_f16_sdwa v42, v39, v85 dst_sel:DWORD dst_unused:UNUSED_PAD src0_sel:DWORD src1_sel:WORD_1
	v_fmac_f16_e32 v28, v85, v39
	v_mul_f16_sdwa v39, v43, v25 dst_sel:DWORD dst_unused:UNUSED_PAD src0_sel:DWORD src1_sel:WORD_1
	v_fmac_f16_e32 v41, v25, v43
	v_mul_f16_e32 v38, v48, v38
	v_fma_f16 v5, v85, v5, -v42
	v_mul_f16_e32 v42, v45, v28
	v_mul_f16_e32 v28, v37, v28
	v_fma_f16 v25, v25, v27, -v39
	v_mul_f16_e32 v27, v36, v41
	v_fmac_f16_e32 v38, v56, v3
	v_fma_f16 v3, v37, v5, -v42
	v_mul_f16_e32 v37, v40, v41
	v_fmac_f16_e32 v28, v45, v5
	v_fma_f16 v5, v40, v25, -v27
	v_pack_b32_f16 v27, v29, v31
	v_pack_b32_f16 v0, v0, v26
	v_fmac_f16_e32 v37, v36, v25
	v_pack_b32_f16 v6, v30, v7
	v_pack_b32_f16 v2, v4, v2
	ds_write2_b32 v24, v27, v8 offset1:11
	v_pack_b32_f16 v8, v32, v34
	v_pack_b32_f16 v4, v35, v38
	;; [unrolled: 1-line block ×4, first 2 shown]
	ds_write2_b32 v24, v8, v9 offset0:22 offset1:33
	ds_write2_b32 v24, v1, v0 offset0:44 offset1:55
	;; [unrolled: 1-line block ×4, first 2 shown]
	ds_write_b32 v24, v5 offset:440
	s_waitcnt lgkmcnt(0)
	s_barrier
	buffer_gl0_inv
	s_and_saveexec_b32 s8, s20
	s_cbranch_execz .LBB0_16
; %bb.15:
	v_mad_u64_u32 v[0:1], null, s2, v21, 0
	v_mad_u64_u32 v[2:3], null, s0, v19, 0
	s_mul_i32 s2, s7, s24
	s_mul_hi_u32 s7, s6, s24
	s_mul_i32 s6, s6, s24
	s_add_i32 s7, s7, s2
	v_add3_u32 v23, 0, v23, v22
	v_mad_u64_u32 v[4:5], null, s3, v21, v[1:2]
	s_lshl_b64 s[2:3], s[6:7], 2
	v_mad_u64_u32 v[5:6], null, s0, v20, 0
	s_add_u32 s6, s10, s2
	s_addc_u32 s7, s11, s3
	s_lshl_b64 s[2:3], s[4:5], 2
	v_mad_u64_u32 v[7:8], null, s1, v19, v[3:4]
	v_mov_b32_e32 v1, v4
	v_mad_u64_u32 v[21:22], null, s0, v18, 0
	ds_read2_b32 v[8:9], v23 offset1:11
	s_add_u32 s2, s6, s2
	v_lshlrev_b64 v[0:1], 2, v[0:1]
	v_mov_b32_e32 v3, v7
	s_addc_u32 s3, s7, s3
	v_mov_b32_e32 v4, v6
	v_lshlrev_b64 v[2:3], 2, v[2:3]
	v_add_co_u32 v24, vcc_lo, s2, v0
	v_add_co_ci_u32_e32 v25, vcc_lo, s3, v1, vcc_lo
	v_mov_b32_e32 v0, v22
	v_add_co_u32 v1, vcc_lo, v24, v2
	v_mad_u64_u32 v[6:7], null, s1, v20, v[4:5]
	v_add_co_ci_u32_e32 v2, vcc_lo, v25, v3, vcc_lo
	v_mad_u64_u32 v[3:4], null, s1, v18, v[0:1]
	v_mad_u64_u32 v[18:19], null, s0, v17, 0
	s_waitcnt lgkmcnt(0)
	global_store_dword v[1:2], v8, off
	v_lshlrev_b64 v[0:1], 2, v[5:6]
	v_mad_u64_u32 v[5:6], null, s0, v16, 0
	v_mov_b32_e32 v22, v3
	ds_read2_b32 v[2:3], v23 offset0:22 offset1:33
	v_mov_b32_e32 v4, v19
	v_add_co_u32 v0, vcc_lo, v24, v0
	v_lshlrev_b64 v[7:8], 2, v[21:22]
	v_add_co_ci_u32_e32 v1, vcc_lo, v25, v1, vcc_lo
	v_mad_u64_u32 v[19:20], null, s1, v17, v[4:5]
	v_mov_b32_e32 v4, v6
	v_mad_u64_u32 v[20:21], null, s0, v15, 0
	v_add_co_u32 v6, vcc_lo, v24, v7
	v_add_co_ci_u32_e32 v7, vcc_lo, v25, v8, vcc_lo
	v_mad_u64_u32 v[16:17], null, s1, v16, v[4:5]
	global_store_dword v[0:1], v9, off
	v_mov_b32_e32 v0, v21
	s_waitcnt lgkmcnt(0)
	global_store_dword v[6:7], v2, off
	v_lshlrev_b64 v[1:2], 2, v[18:19]
	v_mov_b32_e32 v6, v16
	v_mad_u64_u32 v[7:8], null, s1, v15, v[0:1]
	v_mad_u64_u32 v[8:9], null, s0, v14, 0
	v_add_co_u32 v0, vcc_lo, v24, v1
	ds_read2_b32 v[15:16], v23 offset0:44 offset1:55
	v_lshlrev_b64 v[4:5], 2, v[5:6]
	v_add_co_ci_u32_e32 v1, vcc_lo, v25, v2, vcc_lo
	v_mov_b32_e32 v21, v7
	v_mov_b32_e32 v2, v9
	global_store_dword v[0:1], v3, off
	v_add_co_u32 v3, vcc_lo, v24, v4
	v_lshlrev_b64 v[0:1], 2, v[20:21]
	v_add_co_ci_u32_e32 v4, vcc_lo, v25, v5, vcc_lo
	v_mad_u64_u32 v[5:6], null, s1, v14, v[2:3]
	v_mad_u64_u32 v[6:7], null, s0, v13, 0
	v_add_co_u32 v0, vcc_lo, v24, v0
	v_add_co_ci_u32_e32 v1, vcc_lo, v25, v1, vcc_lo
	v_mov_b32_e32 v9, v5
	s_waitcnt lgkmcnt(0)
	global_store_dword v[3:4], v15, off
	global_store_dword v[0:1], v16, off
	ds_read2_b32 v[0:1], v23 offset0:66 offset1:77
	v_mov_b32_e32 v4, v7
	v_lshlrev_b64 v[2:3], 2, v[8:9]
	v_mad_u64_u32 v[8:9], null, s0, v11, 0
	v_mad_u64_u32 v[14:15], null, s0, v12, 0
	;; [unrolled: 1-line block ×4, first 2 shown]
	v_mov_b32_e32 v5, v9
	v_add_co_u32 v2, vcc_lo, v24, v2
	v_add_co_ci_u32_e32 v3, vcc_lo, v25, v3, vcc_lo
	v_mad_u64_u32 v[18:19], null, s1, v11, v[5:6]
	v_mov_b32_e32 v7, v15
	s_waitcnt lgkmcnt(0)
	global_store_dword v[2:3], v0, off
	v_mov_b32_e32 v0, v17
	v_mad_u64_u32 v[11:12], null, s1, v12, v[7:8]
	v_mov_b32_e32 v7, v4
	v_mov_b32_e32 v9, v18
	v_mad_u64_u32 v[4:5], null, s1, v10, v[0:1]
	ds_read_b32 v0, v23 offset:440
	v_lshlrev_b64 v[2:3], 2, v[6:7]
	v_lshlrev_b64 v[5:6], 2, v[8:9]
	ds_read2_b32 v[7:8], v23 offset0:88 offset1:99
	v_mov_b32_e32 v15, v11
	v_mov_b32_e32 v17, v4
	v_add_co_u32 v2, vcc_lo, v24, v2
	v_lshlrev_b64 v[9:10], 2, v[14:15]
	v_add_co_ci_u32_e32 v3, vcc_lo, v25, v3, vcc_lo
	v_add_co_u32 v4, vcc_lo, v24, v5
	v_lshlrev_b64 v[11:12], 2, v[16:17]
	v_add_co_ci_u32_e32 v5, vcc_lo, v25, v6, vcc_lo
	v_add_co_u32 v9, vcc_lo, v24, v9
	v_add_co_ci_u32_e32 v10, vcc_lo, v25, v10, vcc_lo
	v_add_co_u32 v11, vcc_lo, v24, v11
	v_add_co_ci_u32_e32 v12, vcc_lo, v25, v12, vcc_lo
	global_store_dword v[2:3], v1, off
	s_waitcnt lgkmcnt(0)
	global_store_dword v[4:5], v7, off
	global_store_dword v[9:10], v8, off
	;; [unrolled: 1-line block ×3, first 2 shown]
.LBB0_16:
	s_endpgm
	.section	.rodata,"a",@progbits
	.p2align	6, 0x0
	.amdhsa_kernel fft_rtc_fwd_len121_factors_11_11_wgs_121_tpt_11_half_op_CI_CI_sbcc_twdbase8_3step
		.amdhsa_group_segment_fixed_size 0
		.amdhsa_private_segment_fixed_size 0
		.amdhsa_kernarg_size 112
		.amdhsa_user_sgpr_count 6
		.amdhsa_user_sgpr_private_segment_buffer 1
		.amdhsa_user_sgpr_dispatch_ptr 0
		.amdhsa_user_sgpr_queue_ptr 0
		.amdhsa_user_sgpr_kernarg_segment_ptr 1
		.amdhsa_user_sgpr_dispatch_id 0
		.amdhsa_user_sgpr_flat_scratch_init 0
		.amdhsa_user_sgpr_private_segment_size 0
		.amdhsa_wavefront_size32 1
		.amdhsa_uses_dynamic_stack 0
		.amdhsa_system_sgpr_private_segment_wavefront_offset 0
		.amdhsa_system_sgpr_workgroup_id_x 1
		.amdhsa_system_sgpr_workgroup_id_y 0
		.amdhsa_system_sgpr_workgroup_id_z 0
		.amdhsa_system_sgpr_workgroup_info 0
		.amdhsa_system_vgpr_workitem_id 0
		.amdhsa_next_free_vgpr 88
		.amdhsa_next_free_sgpr 59
		.amdhsa_reserve_vcc 1
		.amdhsa_reserve_flat_scratch 0
		.amdhsa_float_round_mode_32 0
		.amdhsa_float_round_mode_16_64 0
		.amdhsa_float_denorm_mode_32 3
		.amdhsa_float_denorm_mode_16_64 3
		.amdhsa_dx10_clamp 1
		.amdhsa_ieee_mode 1
		.amdhsa_fp16_overflow 0
		.amdhsa_workgroup_processor_mode 1
		.amdhsa_memory_ordered 1
		.amdhsa_forward_progress 0
		.amdhsa_shared_vgpr_count 0
		.amdhsa_exception_fp_ieee_invalid_op 0
		.amdhsa_exception_fp_denorm_src 0
		.amdhsa_exception_fp_ieee_div_zero 0
		.amdhsa_exception_fp_ieee_overflow 0
		.amdhsa_exception_fp_ieee_underflow 0
		.amdhsa_exception_fp_ieee_inexact 0
		.amdhsa_exception_int_div_zero 0
	.end_amdhsa_kernel
	.text
.Lfunc_end0:
	.size	fft_rtc_fwd_len121_factors_11_11_wgs_121_tpt_11_half_op_CI_CI_sbcc_twdbase8_3step, .Lfunc_end0-fft_rtc_fwd_len121_factors_11_11_wgs_121_tpt_11_half_op_CI_CI_sbcc_twdbase8_3step
                                        ; -- End function
	.section	.AMDGPU.csdata,"",@progbits
; Kernel info:
; codeLenInByte = 10248
; NumSgprs: 61
; NumVgprs: 88
; ScratchSize: 0
; MemoryBound: 0
; FloatMode: 240
; IeeeMode: 1
; LDSByteSize: 0 bytes/workgroup (compile time only)
; SGPRBlocks: 7
; VGPRBlocks: 10
; NumSGPRsForWavesPerEU: 61
; NumVGPRsForWavesPerEU: 88
; Occupancy: 10
; WaveLimiterHint : 1
; COMPUTE_PGM_RSRC2:SCRATCH_EN: 0
; COMPUTE_PGM_RSRC2:USER_SGPR: 6
; COMPUTE_PGM_RSRC2:TRAP_HANDLER: 0
; COMPUTE_PGM_RSRC2:TGID_X_EN: 1
; COMPUTE_PGM_RSRC2:TGID_Y_EN: 0
; COMPUTE_PGM_RSRC2:TGID_Z_EN: 0
; COMPUTE_PGM_RSRC2:TIDIG_COMP_CNT: 0
	.text
	.p2alignl 6, 3214868480
	.fill 48, 4, 3214868480
	.type	__hip_cuid_d2de7a51ec11353,@object ; @__hip_cuid_d2de7a51ec11353
	.section	.bss,"aw",@nobits
	.globl	__hip_cuid_d2de7a51ec11353
__hip_cuid_d2de7a51ec11353:
	.byte	0                               ; 0x0
	.size	__hip_cuid_d2de7a51ec11353, 1

	.ident	"AMD clang version 19.0.0git (https://github.com/RadeonOpenCompute/llvm-project roc-6.4.0 25133 c7fe45cf4b819c5991fe208aaa96edf142730f1d)"
	.section	".note.GNU-stack","",@progbits
	.addrsig
	.addrsig_sym __hip_cuid_d2de7a51ec11353
	.amdgpu_metadata
---
amdhsa.kernels:
  - .args:
      - .actual_access:  read_only
        .address_space:  global
        .offset:         0
        .size:           8
        .value_kind:     global_buffer
      - .address_space:  global
        .offset:         8
        .size:           8
        .value_kind:     global_buffer
      - .offset:         16
        .size:           8
        .value_kind:     by_value
      - .actual_access:  read_only
        .address_space:  global
        .offset:         24
        .size:           8
        .value_kind:     global_buffer
      - .actual_access:  read_only
        .address_space:  global
        .offset:         32
        .size:           8
        .value_kind:     global_buffer
      - .actual_access:  read_only
        .address_space:  global
        .offset:         40
        .size:           8
        .value_kind:     global_buffer
      - .offset:         48
        .size:           8
        .value_kind:     by_value
      - .actual_access:  read_only
        .address_space:  global
        .offset:         56
        .size:           8
        .value_kind:     global_buffer
      - .actual_access:  read_only
        .address_space:  global
        .offset:         64
        .size:           8
        .value_kind:     global_buffer
      - .offset:         72
        .size:           4
        .value_kind:     by_value
      - .actual_access:  read_only
        .address_space:  global
        .offset:         80
        .size:           8
        .value_kind:     global_buffer
      - .actual_access:  read_only
        .address_space:  global
        .offset:         88
        .size:           8
        .value_kind:     global_buffer
      - .actual_access:  read_only
        .address_space:  global
        .offset:         96
        .size:           8
        .value_kind:     global_buffer
      - .actual_access:  write_only
        .address_space:  global
        .offset:         104
        .size:           8
        .value_kind:     global_buffer
    .group_segment_fixed_size: 0
    .kernarg_segment_align: 8
    .kernarg_segment_size: 112
    .language:       OpenCL C
    .language_version:
      - 2
      - 0
    .max_flat_workgroup_size: 121
    .name:           fft_rtc_fwd_len121_factors_11_11_wgs_121_tpt_11_half_op_CI_CI_sbcc_twdbase8_3step
    .private_segment_fixed_size: 0
    .sgpr_count:     61
    .sgpr_spill_count: 0
    .symbol:         fft_rtc_fwd_len121_factors_11_11_wgs_121_tpt_11_half_op_CI_CI_sbcc_twdbase8_3step.kd
    .uniform_work_group_size: 1
    .uses_dynamic_stack: false
    .vgpr_count:     88
    .vgpr_spill_count: 0
    .wavefront_size: 32
    .workgroup_processor_mode: 1
amdhsa.target:   amdgcn-amd-amdhsa--gfx1030
amdhsa.version:
  - 1
  - 2
...

	.end_amdgpu_metadata
